;; amdgpu-corpus repo=ROCm/rocFFT kind=compiled arch=gfx950 opt=O3
	.text
	.amdgcn_target "amdgcn-amd-amdhsa--gfx950"
	.amdhsa_code_object_version 6
	.protected	bluestein_single_back_len3240_dim1_sp_op_CI_CI ; -- Begin function bluestein_single_back_len3240_dim1_sp_op_CI_CI
	.globl	bluestein_single_back_len3240_dim1_sp_op_CI_CI
	.p2align	8
	.type	bluestein_single_back_len3240_dim1_sp_op_CI_CI,@function
bluestein_single_back_len3240_dim1_sp_op_CI_CI: ; @bluestein_single_back_len3240_dim1_sp_op_CI_CI
; %bb.0:
	s_load_dwordx4 s[4:7], s[0:1], 0x28
	v_mul_u32_u24_e32 v1, 0x25f, v0
	v_add_u32_sdwa v180, s2, v1 dst_sel:DWORD dst_unused:UNUSED_PAD src0_sel:DWORD src1_sel:WORD_1
	v_mov_b32_e32 v181, 0
	s_waitcnt lgkmcnt(0)
	v_cmp_gt_u64_e32 vcc, s[4:5], v[180:181]
	s_and_saveexec_b64 s[2:3], vcc
	s_cbranch_execz .LBB0_2
; %bb.1:
	s_load_dwordx4 s[12:15], s[0:1], 0x18
	s_load_dwordx4 s[8:11], s[0:1], 0x0
	v_mov_b32_e32 v2, s6
	v_mov_b32_e32 v3, s7
	s_movk_i32 s2, 0x6c
	s_waitcnt lgkmcnt(0)
	s_load_dwordx4 s[4:7], s[14:15], 0x0
	v_mul_lo_u16_sdwa v1, v1, s2 dst_sel:DWORD dst_unused:UNUSED_PAD src0_sel:WORD_1 src1_sel:DWORD
	s_load_dwordx4 s[12:15], s[12:13], 0x0
	v_sub_u16_e32 v188, v0, v1
	v_mov_b32_e32 v26, 0x21c0
	s_waitcnt lgkmcnt(0)
	v_mad_u64_u32 v[4:5], s[2:3], s6, v180, 0
	v_mov_b32_e32 v0, v5
	v_mad_u64_u32 v[0:1], s[2:3], s7, v180, v[0:1]
	v_accvgpr_write_b32 a2, v0
	v_mad_u64_u32 v[0:1], s[2:3], s14, v180, 0
	v_accvgpr_write_b32 a0, v4
	v_mov_b32_e32 v4, v1
	v_mad_u64_u32 v[4:5], s[2:3], s15, v180, v[4:5]
	v_mov_b32_e32 v1, v4
	v_mad_u64_u32 v[4:5], s[2:3], s12, v188, 0
	;; [unrolled: 2-line block ×3, first 2 shown]
	v_mov_b32_e32 v5, v6
	v_lshl_add_u64 v[0:1], v[0:1], 3, v[2:3]
	v_lshl_add_u64 v[0:1], v[4:5], 3, v[0:1]
	v_mad_u64_u32 v[2:3], s[2:3], s12, v26, v[0:1]
	s_mul_i32 s2, s13, 0x21c0
	s_nop 0
	v_add_u32_e32 v3, s2, v3
	v_mad_u64_u32 v[4:5], s[6:7], s12, v26, v[2:3]
	v_add_u32_e32 v5, s2, v5
	v_mov_b32_e32 v6, 0xffffbfe0
	s_mul_i32 s3, s13, 0xffffbfe0
	v_lshlrev_b32_e32 v180, 3, v188
	v_mad_u64_u32 v[6:7], s[6:7], s12, v6, v[4:5]
	s_sub_i32 s3, s3, s12
	v_lshl_add_u64 v[236:237], s[8:9], 0, v[180:181]
	s_movk_i32 s20, 0x2000
	v_add_u32_e32 v7, s3, v7
	v_add_co_u32_e32 v28, vcc, s20, v236
	v_mad_u64_u32 v[8:9], s[6:7], s12, v26, v[6:7]
	s_nop 0
	v_addc_co_u32_e32 v29, vcc, 0, v237, vcc
	s_movk_i32 s15, 0x4000
	v_add_u32_e32 v9, s2, v9
	global_load_dwordx2 v[30:31], v[0:1], off
	global_load_dwordx2 v[60:61], v180, s[8:9]
	global_load_dwordx2 v[40:41], v[28:29], off offset:448
	global_load_dwordx2 v[32:33], v[2:3], off
	s_nop 0
	global_load_dwordx2 v[0:1], v[4:5], off
	v_add_co_u32_e32 v2, vcc, s15, v236
	v_mad_u64_u32 v[10:11], s[6:7], s12, v26, v[8:9]
	s_nop 0
	v_addc_co_u32_e32 v3, vcc, 0, v237, vcc
	v_mov_b32_e32 v24, 0xffffbfe0
	v_add_u32_e32 v11, s2, v11
	global_load_dwordx2 v[56:57], v[2:3], off offset:896
	v_mad_u64_u32 v[12:13], s[6:7], s12, v24, v[10:11]
	v_add_u32_e32 v13, s3, v13
	global_load_dwordx2 v[58:59], v180, s[8:9] offset:864
	global_load_dwordx2 v[4:5], v[6:7], off
	v_mad_u64_u32 v[14:15], s[6:7], s12, v26, v[12:13]
	v_add_u32_e32 v15, s2, v15
	global_load_dwordx2 v[6:7], v[8:9], off
	global_load_dwordx2 v[54:55], v[28:29], off offset:1312
	v_mad_u64_u32 v[16:17], s[6:7], s12, v26, v[14:15]
	global_load_dwordx2 v[8:9], v[10:11], off
	global_load_dwordx2 v[52:53], v[2:3], off offset:1760
	s_nop 0
	global_load_dwordx2 v[10:11], v[12:13], off
	global_load_dwordx2 v[50:51], v180, s[8:9] offset:1728
	s_nop 0
	global_load_dwordx2 v[12:13], v[14:15], off
	global_load_dwordx2 v[48:49], v[28:29], off offset:2176
	v_add_u32_e32 v17, s2, v17
	v_mad_u64_u32 v[18:19], s[6:7], s12, v24, v[16:17]
	v_add_u32_e32 v19, s3, v19
	global_load_dwordx2 v[14:15], v[16:17], off
	global_load_dwordx2 v[44:45], v[2:3], off offset:2624
	v_mad_u64_u32 v[20:21], s[6:7], s12, v26, v[18:19]
	v_add_u32_e32 v21, s2, v21
	global_load_dwordx2 v[16:17], v[18:19], off
	global_load_dwordx2 v[46:47], v180, s[8:9] offset:2592
	v_mad_u64_u32 v[22:23], s[6:7], s12, v26, v[20:21]
	v_add_u32_e32 v23, s2, v23
	global_load_dwordx2 v[18:19], v[20:21], off
	global_load_dwordx2 v[42:43], v[28:29], off offset:3040
	s_nop 0
	global_load_dwordx2 v[20:21], v[22:23], off
	global_load_dwordx2 v[38:39], v[2:3], off offset:3488
	v_mad_u64_u32 v[24:25], s[6:7], s12, v24, v[22:23]
	v_add_u32_e32 v25, s3, v25
	global_load_dwordx2 v[22:23], v[24:25], off
	global_load_dwordx2 v[36:37], v180, s[8:9] offset:3456
	v_mad_u64_u32 v[24:25], s[6:7], s12, v26, v[24:25]
	v_add_u32_e32 v25, s2, v25
	global_load_dwordx2 v[26:27], v[24:25], off
	global_load_dwordx2 v[34:35], v[28:29], off offset:3904
	s_mov_b32 s13, 0
	v_mov_b32_e32 v189, s13
	s_mov_b64 s[6:7], 0x6c
	v_lshl_add_u64 v[80:81], v[188:189], 0, s[6:7]
	s_mov_b64 s[6:7], 0xd8
	v_lshl_add_u64 v[68:69], v[188:189], 0, s[6:7]
	s_movk_i32 s13, 0x5000
	s_mov_b64 s[6:7], 0x144
	v_lshl_add_u64 v[70:71], v[188:189], 0, s[6:7]
	s_movk_i32 s22, 0x1000
	s_movk_i32 s21, 0x3000
	v_add_u32_e32 v69, 0x2800, v180
	v_mov_b32_e32 v183, v69
	s_mov_b32 s8, 0x3f167918
	s_mov_b32 s14, 0x3f4f1bbd
	;; [unrolled: 1-line block ×4, first 2 shown]
	s_load_dwordx2 s[0:1], s[0:1], 0x38
	s_waitcnt vmcnt(26)
	v_mul_f32_e32 v28, v31, v61
	v_mul_f32_e32 v29, v30, v61
	v_fmac_f32_e32 v28, v30, v60
	v_fma_f32 v29, v31, v60, -v29
	s_waitcnt vmcnt(24)
	v_mul_f32_e32 v30, v33, v41
	v_mul_f32_e32 v31, v32, v41
	v_accvgpr_write_b32 a20, v40
	v_fmac_f32_e32 v30, v32, v40
	v_fma_f32 v31, v33, v40, -v31
	v_accvgpr_write_b32 a21, v41
	global_load_dwordx2 v[40:41], v[2:3], off offset:32
	s_waitcnt vmcnt(23)
	v_mul_f32_e32 v2, v1, v57
	v_fmac_f32_e32 v2, v0, v56
	v_mul_f32_e32 v0, v0, v57
	v_fma_f32 v3, v1, v56, -v0
	s_waitcnt vmcnt(21)
	v_mul_f32_e32 v0, v5, v59
	v_mul_f32_e32 v1, v4, v59
	v_fmac_f32_e32 v0, v4, v58
	v_fma_f32 v1, v5, v58, -v1
	ds_write_b64 v180, v[30:31] offset:8640
	ds_write_b64 v180, v[2:3] offset:17280
	ds_write2_b64 v180, v[28:29], v[0:1] offset1:108
	s_waitcnt vmcnt(19)
	v_mul_f32_e32 v0, v7, v55
	v_mul_f32_e32 v1, v6, v55
	v_fmac_f32_e32 v0, v6, v54
	v_fma_f32 v1, v7, v54, -v1
	s_waitcnt vmcnt(17)
	v_mul_f32_e32 v2, v9, v53
	s_waitcnt vmcnt(13)
	v_mul_f32_e32 v6, v13, v49
	v_mul_f32_e32 v7, v12, v49
	v_fmac_f32_e32 v2, v8, v52
	v_mul_f32_e32 v3, v8, v53
	v_mul_f32_e32 v4, v11, v51
	;; [unrolled: 1-line block ×3, first 2 shown]
	v_fmac_f32_e32 v6, v12, v48
	v_fma_f32 v7, v13, v48, -v7
	v_add_u32_e32 v8, 0x2400, v180
	v_mov_b32_e32 v32, 0x21c0
	v_fmac_f32_e32 v4, v10, v50
	v_fma_f32 v5, v11, v50, -v5
	ds_write2_b64 v8, v[0:1], v[6:7] offset0:36 offset1:144
	v_add_co_u32_e32 v0, vcc, s13, v236
	v_mad_u64_u32 v[10:11], s[6:7], s12, v32, v[24:25]
	v_accvgpr_write_b32 a26, v60
	v_addc_co_u32_e32 v1, vcc, 0, v237, vcc
	s_waitcnt vmcnt(11)
	v_mul_f32_e32 v6, v15, v45
	v_mul_f32_e32 v7, v14, v45
	v_add_u32_e32 v11, s2, v11
	v_mov_b32_e32 v30, 0xffffbfe0
	v_accvgpr_write_b32 a27, v61
	v_fma_f32 v3, v9, v52, -v3
	v_accvgpr_write_b32 a3, v8
	global_load_dwordx2 v[66:67], v[0:1], off offset:256
	global_load_dwordx2 v[60:61], v[0:1], off offset:1120
	v_fmac_f32_e32 v6, v14, v44
	v_fma_f32 v7, v15, v44, -v7
	v_add_u32_e32 v8, 0x4400, v180
	global_load_dwordx2 v[12:13], v[10:11], off
	v_mad_u64_u32 v[10:11], s[6:7], s12, v30, v[10:11]
	ds_write2_b64 v8, v[2:3], v[6:7] offset0:92 offset1:200
	s_waitcnt vmcnt(12)
	v_mul_f32_e32 v2, v17, v47
	v_mul_f32_e32 v3, v16, v47
	v_add_u32_e32 v11, s3, v11
	v_fmac_f32_e32 v2, v16, v46
	v_fma_f32 v3, v17, v46, -v3
	v_add_u32_e32 v6, 0x400, v180
	global_load_dwordx2 v[14:15], v[10:11], off
	v_add_co_u32_e32 v16, vcc, s22, v236
	v_mad_u64_u32 v[10:11], s[6:7], s12, v32, v[10:11]
	ds_write2_b64 v6, v[4:5], v[2:3] offset0:88 offset1:196
	s_waitcnt vmcnt(11)
	v_mul_f32_e32 v2, v19, v43
	v_mul_f32_e32 v3, v18, v43
	s_waitcnt vmcnt(9)
	v_mul_f32_e32 v4, v21, v39
	v_addc_co_u32_e32 v17, vcc, 0, v237, vcc
	v_add_u32_e32 v11, s2, v11
	v_fmac_f32_e32 v2, v18, v42
	v_fma_f32 v3, v19, v42, -v3
	v_fmac_f32_e32 v4, v20, v38
	v_mul_f32_e32 v5, v20, v39
	global_load_dwordx2 v[18:19], v[10:11], off
	v_add_co_u32_e32 v20, vcc, s21, v236
	v_mad_u64_u32 v[10:11], s[6:7], s12, v32, v[10:11]
	v_mov_b32_e32 v71, v6
	v_fma_f32 v5, v21, v38, -v5
	s_waitcnt vmcnt(8)
	v_mul_f32_e32 v6, v23, v37
	v_mul_f32_e32 v7, v22, v37
	v_addc_co_u32_e32 v21, vcc, 0, v237, vcc
	v_add_u32_e32 v11, s2, v11
	v_fmac_f32_e32 v6, v22, v36
	v_fma_f32 v7, v23, v36, -v7
	global_load_dwordx2 v[74:75], v[16:17], off offset:224
	global_load_dwordx2 v[72:73], v[20:21], off offset:672
	global_load_dwordx2 v[22:23], v[10:11], off
	v_mad_u64_u32 v[10:11], s[6:7], s12, v30, v[10:11]
	v_add_u32_e32 v11, s3, v11
	global_load_dwordx2 v[24:25], v[10:11], off
	global_load_dwordx2 v[64:65], v[16:17], off offset:1088
	v_mad_u64_u32 v[10:11], s[6:7], s12, v32, v[10:11]
	v_accvgpr_write_b32 a64, v8
	s_waitcnt vmcnt(11)
	v_mul_f32_e32 v8, v27, v35
	v_mul_f32_e32 v9, v26, v35
	v_add_u32_e32 v11, s2, v11
	v_fmac_f32_e32 v8, v26, v34
	v_fma_f32 v9, v27, v34, -v9
	global_load_dwordx2 v[26:27], v[10:11], off
	global_load_dwordx2 v[62:63], v[20:21], off offset:1536
	v_mad_u64_u32 v[10:11], s[6:7], s12, v32, v[10:11]
	v_accvgpr_write_b32 a61, v59
	v_add_u32_e32 v11, s2, v11
	v_accvgpr_write_b32 a60, v58
	global_load_dwordx2 v[28:29], v[10:11], off
	global_load_dwordx2 v[58:59], v[0:1], off offset:1984
	v_mad_u64_u32 v[10:11], s[6:7], s12, v30, v[10:11]
	v_accvgpr_write_b32 a63, v57
	v_add_u32_e32 v11, s3, v11
	v_accvgpr_write_b32 a62, v56
	v_accvgpr_write_b32 a42, v42
	global_load_dwordx2 v[30:31], v[10:11], off
	global_load_dwordx2 v[56:57], v[16:17], off offset:1952
	v_mad_u64_u32 v[10:11], s[6:7], s12, v32, v[10:11]
	v_accvgpr_write_b32 a59, v55
	v_accvgpr_write_b32 a43, v43
	v_mov_b32_e32 v42, 0x21c0
	v_add_u32_e32 v11, s2, v11
	v_accvgpr_write_b32 a58, v54
	v_accvgpr_write_b32 a34, v36
	global_load_dwordx2 v[32:33], v[10:11], off
	global_load_dwordx2 v[54:55], v[20:21], off offset:2400
	v_mad_u64_u32 v[10:11], s[6:7], s12, v42, v[10:11]
	v_accvgpr_write_b32 a57, v53
	v_accvgpr_write_b32 a35, v37
	;; [unrolled: 1-line block ×3, first 2 shown]
	v_mov_b32_e32 v36, 0xffffbfe0
	v_add_u32_e32 v11, s2, v11
	v_accvgpr_write_b32 a56, v52
	v_accvgpr_write_b32 a31, v35
	global_load_dwordx2 v[34:35], v[10:11], off
	global_load_dwordx2 v[52:53], v[0:1], off offset:2848
	v_mad_u64_u32 v[10:11], s[6:7], s12, v36, v[10:11]
	v_accvgpr_write_b32 a55, v51
	v_add_u32_e32 v11, s3, v11
	v_accvgpr_write_b32 a54, v50
	global_load_dwordx2 v[36:37], v[10:11], off
	global_load_dwordx2 v[50:51], v[16:17], off offset:2816
	v_mad_u64_u32 v[10:11], s[6:7], s12, v42, v[10:11]
	v_accvgpr_write_b32 a53, v49
	v_accvgpr_write_b32 a38, v38
	v_add_u32_e32 v11, s2, v11
	v_accvgpr_write_b32 a52, v48
	v_accvgpr_write_b32 a39, v39
	global_load_dwordx2 v[38:39], v[10:11], off
	global_load_dwordx2 v[48:49], v[20:21], off offset:3264
	v_mad_u64_u32 v[10:11], s[6:7], s12, v42, v[10:11]
	v_accvgpr_write_b32 a46, v46
	v_mov_b32_e32 v43, 0xffffbfe0
	v_add_u32_e32 v11, s2, v11
	v_accvgpr_write_b32 a47, v47
	global_load_dwordx2 v[20:21], v[10:11], off
	global_load_dwordx2 v[46:47], v[0:1], off offset:3712
	v_mad_u64_u32 v[0:1], s[6:7], s12, v43, v[10:11]
	v_accvgpr_write_b32 a51, v45
	v_mov_b32_e32 v42, 0x21c0
	v_add_u32_e32 v1, s3, v1
	v_accvgpr_write_b32 a50, v44
	global_load_dwordx2 v[10:11], v[0:1], off
	global_load_dwordx2 v[44:45], v[16:17], off offset:3680
	v_mad_u64_u32 v[0:1], s[6:7], s12, v42, v[0:1]
	v_add_u32_e32 v1, s2, v1
	global_load_dwordx2 v[16:17], v[0:1], off
	v_mad_u64_u32 v[0:1], s[6:7], s12, v42, v[0:1]
	v_add_u32_e32 v1, s2, v1
	s_movk_i32 s2, 0x6000
	v_add_co_u32_e32 v198, vcc, s2, v236
	global_load_dwordx2 v[0:1], v[0:1], off
	s_nop 0
	v_addc_co_u32_e32 v199, vcc, 0, v237, vcc
	global_load_dwordx2 v[42:43], v[198:199], off offset:480
	ds_write2_b64 v69, v[2:3], v[8:9] offset0:124 offset1:232
	s_waitcnt vmcnt(28)
	v_mul_f32_e32 v2, v13, v67
	v_mul_f32_e32 v3, v12, v67
	v_fmac_f32_e32 v2, v12, v66
	v_fma_f32 v3, v13, v66, -v3
	v_add_u32_e32 v8, 0x4c00, v180
	ds_write2_b64 v8, v[4:5], v[2:3] offset0:52 offset1:160
	s_waitcnt vmcnt(25)
	v_mul_f32_e32 v2, v15, v75
	v_mul_f32_e32 v3, v14, v75
	v_fmac_f32_e32 v2, v14, v74
	v_fma_f32 v3, v15, v74, -v3
	v_add_u32_e32 v4, 0xc00, v180
	v_accvgpr_write_b32 a65, v8
	ds_write2_b64 v4, v[6:7], v[2:3] offset0:48 offset1:156
	s_waitcnt vmcnt(24)
	v_mul_f32_e32 v2, v19, v73
	v_mul_f32_e32 v3, v18, v73
	s_waitcnt vmcnt(19)
	v_mul_f32_e32 v8, v27, v63
	v_mul_f32_e32 v9, v26, v63
	v_accvgpr_write_b32 a48, v66
	v_fmac_f32_e32 v2, v18, v72
	v_fma_f32 v3, v19, v72, -v3
	v_fmac_f32_e32 v8, v26, v62
	v_fma_f32 v9, v27, v62, -v9
	v_add_u32_e32 v12, 0x3000, v180
	v_accvgpr_write_b32 a49, v67
	v_mov_b32_e32 v66, v4
	v_mul_f32_e32 v4, v23, v61
	v_mul_f32_e32 v5, v22, v61
	ds_write2_b64 v12, v[2:3], v[8:9] offset0:84 offset1:192
	s_waitcnt vmcnt(17)
	v_mul_f32_e32 v2, v29, v59
	v_mul_f32_e32 v3, v28, v59
	v_fmac_f32_e32 v4, v22, v60
	v_fma_f32 v5, v23, v60, -v5
	v_fmac_f32_e32 v2, v28, v58
	v_fma_f32 v3, v29, v58, -v3
	v_add_u32_e32 v8, 0x5000, v180
	v_mul_f32_e32 v6, v25, v65
	v_mul_f32_e32 v7, v24, v65
	ds_write2_b64 v8, v[4:5], v[2:3] offset0:140 offset1:248
	s_waitcnt vmcnt(15)
	v_mul_f32_e32 v2, v31, v57
	v_mul_f32_e32 v3, v30, v57
	v_fmac_f32_e32 v6, v24, v64
	v_fma_f32 v7, v25, v64, -v7
	v_accvgpr_write_b32 a24, v58
	v_fmac_f32_e32 v2, v30, v56
	v_fma_f32 v3, v31, v56, -v3
	v_add_u32_e32 v4, 0x1000, v180
	v_accvgpr_write_b32 a25, v59
	v_mov_b32_e32 v58, v8
	ds_write2_b64 v4, v[6:7], v[2:3] offset0:136 offset1:244
	s_waitcnt vmcnt(13)
	v_mul_f32_e32 v2, v33, v55
	v_mul_f32_e32 v3, v32, v55
	s_waitcnt vmcnt(7)
	v_mul_f32_e32 v8, v39, v49
	v_mul_f32_e32 v9, v38, v49
	v_accvgpr_write_b32 a68, v12
	v_accvgpr_write_b32 a22, v56
	v_fmac_f32_e32 v2, v32, v54
	v_fma_f32 v3, v33, v54, -v3
	v_fmac_f32_e32 v8, v38, v48
	v_fma_f32 v9, v39, v48, -v9
	v_add_u32_e32 v12, 0x3800, v180
	v_accvgpr_write_b32 a23, v57
	v_mov_b32_e32 v56, v4
	v_mul_f32_e32 v4, v35, v53
	v_mul_f32_e32 v5, v34, v53
	ds_write2_b64 v12, v[2:3], v[8:9] offset0:44 offset1:152
	s_waitcnt vmcnt(5)
	v_mul_f32_e32 v2, v21, v47
	v_mul_f32_e32 v3, v20, v47
	v_fmac_f32_e32 v4, v34, v52
	v_fma_f32 v5, v35, v52, -v5
	v_fmac_f32_e32 v2, v20, v46
	v_fma_f32 v3, v21, v46, -v3
	v_add_u32_e32 v8, 0x5800, v180
	v_mul_f32_e32 v6, v37, v51
	v_mul_f32_e32 v7, v36, v51
	ds_write2_b64 v8, v[4:5], v[2:3] offset0:100 offset1:208
	s_waitcnt vmcnt(3)
	v_mul_f32_e32 v2, v11, v45
	v_mul_f32_e32 v3, v10, v45
	v_fmac_f32_e32 v6, v36, v50
	v_fma_f32 v7, v37, v50, -v7
	v_fmac_f32_e32 v2, v10, v44
	v_fma_f32 v3, v11, v44, -v3
	v_add_u32_e32 v4, 0x1800, v180
	ds_write2_b64 v4, v[6:7], v[2:3] offset0:96 offset1:204
	s_waitcnt vmcnt(2)
	v_mul_f32_e32 v2, v17, v41
	v_mul_f32_e32 v3, v16, v41
	v_fmac_f32_e32 v2, v16, v40
	v_fma_f32 v3, v17, v40, -v3
	ds_write_b64 v180, v[2:3] offset:16416
	s_waitcnt vmcnt(0)
	v_mul_f32_e32 v2, v1, v43
	v_fmac_f32_e32 v2, v0, v42
	v_mul_f32_e32 v0, v0, v43
	v_accvgpr_write_b32 a36, v60
	v_accvgpr_write_b32 a72, v8
	v_fma_f32 v3, v1, v42, -v0
	v_add_u32_e32 v8, 0x2000, v180
	v_accvgpr_write_b32 a37, v61
	v_accvgpr_write_b32 a71, v12
	v_mov_b32_e32 v60, v4
	ds_write_b64 v180, v[2:3] offset:25056
	s_waitcnt lgkmcnt(0)
	s_barrier
	ds_read2_b64 v[0:3], v180 offset1:108
	ds_read2_b64 v[4:7], v8 offset0:56 offset1:164
	v_add_u32_e32 v12, 0x4000, v180
	v_mov_b32_e32 v168, v8
	ds_read2_b64 v[8:11], v12 offset0:112 offset1:220
	v_accvgpr_write_b32 a28, v62
	v_mov_b32_e32 v186, v12
	v_mul_lo_u16_e32 v12, 3, v188
	v_accvgpr_write_b32 a29, v63
	v_lshlrev_b32_e32 v62, 3, v12
	s_waitcnt lgkmcnt(1)
	v_pk_add_f32 v[12:13], v[2:3], v[6:7]
	ds_read2_b64 v[16:19], v69 offset0:16 offset1:124
	s_waitcnt lgkmcnt(1)
	v_pk_add_f32 v[32:33], v[12:13], v[10:11]
	ds_read2_b64 v[12:15], v71 offset0:88 offset1:196
	v_add_u32_e32 v26, 0x4800, v180
	ds_read2_b64 v[20:23], v26 offset0:72 offset1:180
	v_pk_add_f32 v[24:25], v[6:7], v[10:11]
	v_pk_add_f32 v[34:35], v[6:7], v[10:11] neg_lo:[0,1] neg_hi:[0,1]
	s_waitcnt lgkmcnt(1)
	v_pk_add_f32 v[6:7], v[12:13], v[16:17]
	v_accvgpr_write_b32 a4, v42
	s_waitcnt lgkmcnt(0)
	v_pk_add_f32 v[36:37], v[6:7], v[20:21]
	v_pk_add_f32 v[6:7], v[16:17], v[20:21]
	v_accvgpr_write_b32 a5, v43
	v_pk_fma_f32 v[38:39], v[6:7], 0.5, v[12:13] op_sel_hi:[1,0,1] neg_lo:[1,0,0] neg_hi:[1,0,0]
	v_pk_add_f32 v[6:7], v[14:15], v[18:19]
	v_mov_b32_e32 v194, v26
	v_pk_add_f32 v[42:43], v[6:7], v[22:23]
	v_add_u32_e32 v6, 0x2c00, v180
	v_pk_fma_f32 v[2:3], v[24:25], 0.5, v[2:3] op_sel_hi:[1,0,1] neg_lo:[1,0,0] neg_hi:[1,0,0]
	ds_read2_b64 v[10:13], v66 offset0:48 offset1:156
	ds_read2_b64 v[24:27], v6 offset0:104 offset1:212
	;; [unrolled: 1-line block ×3, first 2 shown]
	v_accvgpr_write_b32 a8, v44
	v_mov_b32_e32 v170, v6
	v_pk_add_f32 v[6:7], v[18:19], v[22:23]
	v_accvgpr_write_b32 a12, v48
	v_accvgpr_write_b32 a9, v45
	v_pk_fma_f32 v[44:45], v[6:7], 0.5, v[14:15] op_sel_hi:[1,0,1] neg_lo:[1,0,0] neg_hi:[1,0,0]
	s_waitcnt lgkmcnt(1)
	v_pk_add_f32 v[6:7], v[10:11], v[24:25]
	v_accvgpr_write_b32 a14, v50
	v_accvgpr_write_b32 a13, v49
	s_waitcnt lgkmcnt(0)
	v_pk_add_f32 v[48:49], v[6:7], v[28:29]
	v_pk_add_f32 v[6:7], v[24:25], v[28:29]
	v_accvgpr_write_b32 a16, v52
	v_accvgpr_write_b32 a15, v51
	v_pk_fma_f32 v[50:51], v[6:7], 0.5, v[10:11] op_sel_hi:[1,0,1] neg_lo:[1,0,0] neg_hi:[1,0,0]
	v_pk_add_f32 v[6:7], v[12:13], v[26:27]
	v_accvgpr_write_b32 a17, v53
	v_accvgpr_write_b32 a10, v46
	;; [unrolled: 1-line block ×3, first 2 shown]
	v_pk_add_f32 v[52:53], v[6:7], v[30:31]
	v_add_u32_e32 v6, 0x3400, v180
	v_accvgpr_write_b32 a11, v47
	v_accvgpr_write_b32 a7, v41
	v_pk_add_f32 v[40:41], v[16:17], v[20:21] neg_lo:[0,1] neg_hi:[0,1]
	v_pk_add_f32 v[46:47], v[18:19], v[22:23] neg_lo:[0,1] neg_hi:[0,1]
	ds_read2_b64 v[14:17], v56 offset0:136 offset1:244
	ds_read2_b64 v[18:21], v6 offset0:64 offset1:172
	v_mov_b32_e32 v171, v6
	v_add_u32_e32 v6, 0x5400, v180
	v_pk_add_f32 v[28:29], v[24:25], v[28:29] neg_lo:[0,1] neg_hi:[0,1]
	ds_read2_b64 v[22:25], v6 offset0:120 offset1:228
	v_accvgpr_write_b32 a18, v54
	v_mov_b32_e32 v178, v6
	v_pk_add_f32 v[6:7], v[26:27], v[30:31]
	v_accvgpr_write_b32 a19, v55
	v_pk_fma_f32 v[54:55], v[6:7], 0.5, v[12:13] op_sel_hi:[1,0,1] neg_lo:[1,0,0] neg_hi:[1,0,0]
	s_waitcnt lgkmcnt(1)
	v_pk_add_f32 v[6:7], v[14:15], v[18:19]
	v_pk_add_f32 v[26:27], v[26:27], v[30:31] neg_lo:[0,1] neg_hi:[0,1]
	s_waitcnt lgkmcnt(0)
	v_pk_add_f32 v[30:31], v[6:7], v[22:23]
	v_pk_add_f32 v[6:7], v[18:19], v[22:23]
	v_mov_b32_e32 v182, v56
	v_pk_fma_f32 v[56:57], v[6:7], 0.5, v[14:15] op_sel_hi:[1,0,1] neg_lo:[1,0,0] neg_hi:[1,0,0]
	v_pk_add_f32 v[6:7], v[16:17], v[20:21]
	v_pk_add_f32 v[18:19], v[18:19], v[22:23] neg_lo:[0,1] neg_hi:[0,1]
	v_pk_add_f32 v[22:23], v[6:7], v[24:25]
	v_pk_add_f32 v[6:7], v[20:21], v[24:25]
	v_mov_b32_e32 v169, v58
	v_pk_fma_f32 v[58:59], v[6:7], 0.5, v[16:17] op_sel_hi:[1,0,1] neg_lo:[1,0,0] neg_hi:[1,0,0]
	v_add_u32_e32 v6, 0x3c00, v180
	ds_read2_b64 v[14:17], v6 offset0:24 offset1:132
	v_mov_b32_e32 v63, v6
	v_pk_add_f32 v[6:7], v[4:5], v[8:9]
	v_pk_add_f32 v[20:21], v[20:21], v[24:25] neg_lo:[0,1] neg_hi:[0,1]
	v_pk_fma_f32 v[24:25], v[6:7], 0.5, v[0:1] op_sel_hi:[1,0,1] neg_lo:[1,0,0] neg_hi:[1,0,0]
	v_pk_add_f32 v[0:1], v[0:1], v[4:5]
	s_mov_b32 s2, 0x3f5db3d7
	v_pk_add_f32 v[0:1], v[0:1], v[8:9]
	v_pk_add_f32 v[8:9], v[4:5], v[8:9] neg_lo:[0,1] neg_hi:[0,1]
	v_accvgpr_write_b32 a40, v72
	ds_read2_b64 v[10:13], v60 offset0:96 offset1:204
	v_mov_b32_e32 v179, v60
	v_add_u32_e32 v60, 0x5c00, v180
	v_pk_mul_f32 v[8:9], v[8:9], s[2:3] op_sel_hi:[1,0]
	v_accvgpr_write_b32 a41, v73
	ds_read2_b64 v[4:7], v60 offset0:80 offset1:188
	v_mov_b32_e32 v72, v60
	v_pk_add_f32 v[60:61], v[24:25], v[8:9] op_sel:[0,1] op_sel_hi:[1,0]
	v_pk_add_f32 v[8:9], v[24:25], v[8:9] op_sel:[0,1] op_sel_hi:[1,0] neg_lo:[0,1] neg_hi:[0,1]
	s_mov_b64 s[6:7], 0x1b0
	v_mov_b32_e32 v24, v60
	v_mov_b32_e32 v25, v9
	s_waitcnt lgkmcnt(0)
	s_barrier
	ds_write2_b64 v62, v[0:1], v[24:25] offset1:1
	v_lshl_add_u64 v[76:77], v[188:189], 0, s[6:7]
	s_mov_b64 s[6:7], 0x21c
	v_pk_mul_f32 v[0:1], v[34:35], s[2:3] op_sel_hi:[1,0]
	v_mov_b32_e32 v9, v61
	v_pk_add_f32 v[24:25], v[2:3], v[0:1] op_sel:[0,1] op_sel_hi:[1,0]
	v_pk_add_f32 v[34:35], v[2:3], v[0:1] op_sel:[0,1] op_sel_hi:[1,0] neg_lo:[0,1] neg_hi:[0,1]
	v_lshl_add_u64 v[0:1], v[188:189], 0, s[6:7]
	v_mul_u32_u24_e32 v1, 3, v80
	s_mov_b64 s[6:7], 0x288
	v_lshlrev_b32_e32 v1, 3, v1
	ds_write_b64 v62, v[8:9] offset:16
	v_mov_b32_e32 v8, v24
	v_mov_b32_e32 v9, v35
	v_lshl_add_u64 v[2:3], v[188:189], 0, s[6:7]
	ds_write2_b64 v1, v[32:33], v[8:9] offset1:1
	v_pk_mul_f32 v[32:33], v[40:41], s[2:3] op_sel_hi:[1,0]
	s_mov_b64 s[6:7], 0x2f4
	v_mov_b32_e32 v3, v1
	v_pk_add_f32 v[40:41], v[38:39], v[32:33] op_sel:[0,1] op_sel_hi:[1,0]
	v_pk_add_f32 v[32:33], v[38:39], v[32:33] op_sel:[0,1] op_sel_hi:[1,0] neg_lo:[0,1] neg_hi:[0,1]
	v_mov_b32_e32 v35, v25
	v_mul_u32_u24_e32 v1, 3, v68
	v_lshl_add_u64 v[8:9], v[188:189], 0, s[6:7]
	s_mov_b64 s[6:7], 0x360
	v_lshlrev_b32_e32 v1, 3, v1
	ds_write_b64 v3, v[34:35] offset:16
	v_mov_b32_e32 v24, v40
	v_mov_b32_e32 v25, v33
	v_pk_mul_f32 v[34:35], v[46:47], s[2:3] op_sel_hi:[1,0]
	v_lshl_add_u64 v[38:39], v[188:189], 0, s[6:7]
	v_accvgpr_write_b32 a66, v3
	ds_write2_b64 v1, v[36:37], v[24:25] offset1:1
	v_mov_b32_e32 v3, v1
	v_mul_u32_u24_e32 v1, 3, v70
	v_pk_add_f32 v[36:37], v[44:45], v[34:35] op_sel:[0,1] op_sel_hi:[1,0]
	v_pk_add_f32 v[34:35], v[44:45], v[34:35] op_sel:[0,1] op_sel_hi:[1,0] neg_lo:[0,1] neg_hi:[0,1]
	v_pk_mul_f32 v[28:29], v[28:29], s[2:3] op_sel_hi:[1,0]
	v_mov_b32_e32 v33, v41
	v_lshlrev_b32_e32 v39, 3, v1
	v_pk_add_f32 v[44:45], v[50:51], v[28:29] op_sel:[0,1] op_sel_hi:[1,0]
	v_pk_add_f32 v[28:29], v[50:51], v[28:29] op_sel:[0,1] op_sel_hi:[1,0] neg_lo:[0,1] neg_hi:[0,1]
	v_pk_mul_f32 v[26:27], v[26:27], s[2:3] op_sel_hi:[1,0]
	v_pk_mul_f32 v[18:19], v[18:19], s[2:3] op_sel_hi:[1,0]
	v_mul_u32_u24_e32 v1, 3, v76
	ds_write_b64 v3, v[32:33] offset:16
	v_mov_b32_e32 v32, v36
	v_mov_b32_e32 v33, v35
	v_mov_b32_e32 v35, v37
	s_mov_b64 s[6:7], 0x3cc
	v_pk_add_f32 v[46:47], v[54:55], v[26:27] op_sel:[0,1] op_sel_hi:[1,0]
	v_pk_add_f32 v[26:27], v[54:55], v[26:27] op_sel:[0,1] op_sel_hi:[1,0] neg_lo:[0,1] neg_hi:[0,1]
	v_pk_add_f32 v[50:51], v[56:57], v[18:19] op_sel:[0,1] op_sel_hi:[1,0]
	v_pk_add_f32 v[18:19], v[56:57], v[18:19] op_sel:[0,1] op_sel_hi:[1,0] neg_lo:[0,1] neg_hi:[0,1]
	v_lshlrev_b32_e32 v56, 3, v1
	v_mul_u32_u24_e32 v1, 3, v0
	ds_write2_b64 v39, v[42:43], v[32:33] offset1:1
	v_pk_add_f32 v[32:33], v[10:11], v[14:15]
	ds_write_b64 v39, v[34:35] offset:16
	v_mov_b32_e32 v35, v29
	v_mov_b32_e32 v29, v45
	v_lshl_add_u64 v[24:25], v[188:189], 0, s[6:7]
	v_pk_mul_f32 v[20:21], v[20:21], s[2:3] op_sel_hi:[1,0]
	v_lshlrev_b32_e32 v40, 3, v1
	v_mul_u32_u24_e32 v1, 3, v2
	v_pk_add_f32 v[32:33], v[32:33], v[4:5]
	v_pk_add_f32 v[36:37], v[14:15], v[4:5]
	v_mov_b32_e32 v34, v44
	v_pk_add_f32 v[4:5], v[14:15], v[4:5] neg_lo:[0,1] neg_hi:[0,1]
	ds_write_b64 v56, v[28:29] offset:16
	v_mov_b32_e32 v29, v27
	v_mov_b32_e32 v27, v47
	v_pk_add_f32 v[54:55], v[58:59], v[20:21] op_sel:[0,1] op_sel_hi:[1,0]
	v_pk_add_f32 v[20:21], v[58:59], v[20:21] op_sel:[0,1] op_sel_hi:[1,0] neg_lo:[0,1] neg_hi:[0,1]
	v_lshlrev_b32_e32 v25, 3, v1
	v_mul_u32_u24_e32 v1, 3, v8
	v_pk_fma_f32 v[10:11], v[36:37], 0.5, v[10:11] op_sel_hi:[1,0,1] neg_lo:[1,0,0] neg_hi:[1,0,0]
	ds_write2_b64 v56, v[48:49], v[34:35] offset1:1
	v_pk_mul_f32 v[4:5], v[4:5], s[2:3] op_sel_hi:[1,0]
	v_mov_b32_e32 v28, v46
	ds_write_b64 v40, v[26:27] offset:16
	v_mov_b32_e32 v27, v19
	v_mov_b32_e32 v19, v51
	v_lshlrev_b32_e32 v9, 3, v1
	v_mul_u32_u24_e32 v1, 3, v38
	v_pk_add_f32 v[14:15], v[10:11], v[4:5] op_sel:[0,1] op_sel_hi:[1,0]
	v_pk_add_f32 v[4:5], v[10:11], v[4:5] op_sel:[0,1] op_sel_hi:[1,0] neg_lo:[0,1] neg_hi:[0,1]
	ds_write2_b64 v40, v[52:53], v[28:29] offset1:1
	v_mov_b32_e32 v26, v50
	ds_write_b64 v25, v[18:19] offset:16
	v_mov_b32_e32 v18, v54
	v_mov_b32_e32 v19, v21
	v_accvgpr_write_b32 a69, v3
	v_lshlrev_b32_e32 v3, 3, v1
	v_pk_add_f32 v[10:11], v[12:13], v[16:17]
	ds_write2_b64 v25, v[30:31], v[26:27] offset1:1
	ds_write2_b64 v9, v[22:23], v[18:19] offset1:1
	v_mov_b32_e32 v21, v55
	v_mov_b32_e32 v19, v5
	;; [unrolled: 1-line block ×3, first 2 shown]
	v_pk_add_f32 v[10:11], v[10:11], v[6:7]
	ds_write_b64 v9, v[20:21] offset:16
	ds_write_b64 v3, v[4:5] offset:16
	v_pk_add_f32 v[4:5], v[16:17], v[6:7]
	v_pk_add_f32 v[6:7], v[16:17], v[6:7] neg_lo:[0,1] neg_hi:[0,1]
	v_pk_fma_f32 v[4:5], v[4:5], 0.5, v[12:13] op_sel_hi:[1,0,1] neg_lo:[1,0,0] neg_hi:[1,0,0]
	v_pk_mul_f32 v[6:7], v[6:7], s[2:3] op_sel_hi:[1,0]
	v_mul_u32_u24_e32 v1, 3, v24
	v_pk_add_f32 v[12:13], v[4:5], v[6:7] op_sel:[0,1] op_sel_hi:[1,0]
	v_pk_add_f32 v[4:5], v[4:5], v[6:7] op_sel:[0,1] op_sel_hi:[1,0] neg_lo:[0,1] neg_hi:[0,1]
	v_lshlrev_b32_e32 v1, 3, v1
	v_mov_b32_e32 v18, v14
	v_mov_b32_e32 v6, v12
	;; [unrolled: 1-line block ×4, first 2 shown]
	s_mov_b32 s3, 0xaaab
	ds_write2_b64 v3, v[32:33], v[18:19] offset1:1
	ds_write2_b64 v1, v[10:11], v[6:7] offset1:1
	ds_write_b64 v1, v[4:5] offset:16
	v_accvgpr_write_b32 a77, v1
	v_mul_u32_u24_sdwa v1, v24, s3 dst_sel:DWORD dst_unused:UNUSED_PAD src0_sel:WORD_0 src1_sel:DWORD
	v_lshrrev_b32_e32 v69, 17, v1
	v_mul_lo_u16_e32 v1, 3, v69
	v_mov_b32_e32 v102, v71
	v_sub_u16_e32 v71, v24, v1
	v_accvgpr_write_b32 a73, v3
	v_lshlrev_b16_e32 v1, 1, v71
	v_mul_u32_u24_sdwa v3, v38, s3 dst_sel:DWORD dst_unused:UNUSED_PAD src0_sel:WORD_0 src1_sel:DWORD
	v_lshlrev_b32_e32 v1, 3, v1
	v_lshrrev_b32_e32 v77, 17, v3
	s_waitcnt lgkmcnt(0)
	s_barrier
	global_load_dwordx4 v[32:35], v1, s[10:11]
	v_mul_lo_u16_e32 v1, 3, v77
	v_sub_u16_e32 v81, v38, v1
	v_lshlrev_b16_e32 v1, 1, v81
	v_lshlrev_b32_e32 v1, 3, v1
	global_load_dwordx4 v[20:23], v1, s[10:11]
	v_mul_u32_u24_sdwa v1, v8, s3 dst_sel:DWORD dst_unused:UNUSED_PAD src0_sel:WORD_0 src1_sel:DWORD
	v_lshrrev_b32_e32 v82, 17, v1
	v_mul_lo_u16_e32 v1, 3, v82
	v_sub_u16_e32 v83, v8, v1
	v_lshlrev_b16_e32 v1, 1, v83
	v_mul_u32_u24_sdwa v3, v2, s3 dst_sel:DWORD dst_unused:UNUSED_PAD src0_sel:WORD_0 src1_sel:DWORD
	v_lshlrev_b32_e32 v1, 3, v1
	v_lshrrev_b32_e32 v84, 17, v3
	v_mul_lo_u16_e32 v3, 3, v84
	global_load_dwordx4 v[16:19], v1, s[10:11]
	v_sub_u16_e32 v85, v2, v3
	v_lshlrev_b16_e32 v1, 1, v85
	v_lshlrev_b32_e32 v1, 3, v1
	v_accvgpr_write_b32 a67, v39
	global_load_dwordx4 v[36:39], v1, s[10:11]
	v_mul_u32_u24_sdwa v1, v0, s3 dst_sel:DWORD dst_unused:UNUSED_PAD src0_sel:WORD_0 src1_sel:DWORD
	v_lshrrev_b32_e32 v24, 17, v1
	v_mul_lo_u16_e32 v1, 3, v24
	v_accvgpr_write_b32 a75, v25
	v_sub_u16_e32 v25, v0, v1
	v_mul_u32_u24_sdwa v0, v76, s3 dst_sel:DWORD dst_unused:UNUSED_PAD src0_sel:WORD_0 src1_sel:DWORD
	v_lshrrev_b32_e32 v26, 17, v0
	v_mul_lo_u16_e32 v0, 3, v26
	v_lshlrev_b16_e32 v1, 1, v25
	v_accvgpr_write_b32 a32, v64
	v_lshlrev_b32_e32 v1, 3, v1
	v_sub_u16_e32 v27, v76, v0
	v_accvgpr_write_b32 a33, v65
	v_mov_b32_e32 v98, v66
	global_load_dwordx4 v[64:67], v1, s[10:11]
	v_lshlrev_b16_e32 v0, 1, v27
	v_lshlrev_b32_e32 v0, 3, v0
	global_load_dwordx4 v[86:89], v0, s[10:11]
	v_mul_u32_u24_sdwa v1, v70, s3 dst_sel:DWORD dst_unused:UNUSED_PAD src0_sel:WORD_0 src1_sel:DWORD
	v_lshrrev_b32_e32 v29, 17, v1
	v_mul_lo_u16_e32 v1, 3, v29
	v_sub_u16_e32 v30, v70, v1
	v_lshlrev_b16_e32 v1, 1, v30
	v_mul_u32_u24_sdwa v0, v68, s3 dst_sel:DWORD dst_unused:UNUSED_PAD src0_sel:WORD_0 src1_sel:DWORD
	v_lshlrev_b32_e32 v1, 3, v1
	v_lshrrev_b32_e32 v28, 17, v0
	global_load_dwordx4 v[90:93], v1, s[10:11]
	v_mul_lo_u16_e32 v0, 3, v28
	v_sub_u16_e32 v31, v68, v0
	v_lshlrev_b16_e32 v0, 1, v31
	v_lshlrev_b32_e32 v0, 3, v0
	global_load_dwordx4 v[174:177], v0, s[10:11]
	ds_read2_b64 v[4:7], v63 offset0:24 offset1:132
	v_accvgpr_write_b32 a74, v9
	ds_read2_b64 v[8:11], v72 offset0:80 offset1:188
	v_accvgpr_write_b32 a76, v40
	v_accvgpr_write_b32 a70, v56
	;; [unrolled: 1-line block ×3, first 2 shown]
	v_mov_b32_e32 v189, v63
	ds_read2_b64 v[60:63], v169 offset0:32 offset1:140
	v_mov_b32_e32 v187, v72
	v_accvgpr_write_b32 a44, v74
	v_accvgpr_write_b32 a45, v75
	s_movk_i32 s3, 0xab
	s_mov_b32 s12, 0x3e9e377a
	s_waitcnt vmcnt(7) lgkmcnt(2)
	v_pk_mul_f32 v[0:1], v[6:7], v[32:33] op_sel:[0,1]
	s_nop 0
	v_pk_fma_f32 v[2:3], v[6:7], v[32:33], v[0:1] op_sel:[0,0,1] op_sel_hi:[1,1,0] neg_lo:[0,0,1] neg_hi:[0,0,1]
	v_pk_fma_f32 v[12:13], v[6:7], v[32:33], v[0:1] op_sel:[0,0,1] op_sel_hi:[1,0,0]
	v_mov_b32_e32 v0, v35
	s_waitcnt lgkmcnt(1)
	v_pk_mul_f32 v[6:7], v[10:11], v[0:1] op_sel_hi:[1,0]
	v_accvgpr_write_b32 a122, v34
	v_accvgpr_write_b32 a124, v35
	v_pk_fma_f32 v[0:1], v[10:11], v[34:35], v[6:7] op_sel:[0,0,1] op_sel_hi:[1,1,0] neg_lo:[0,0,1] neg_hi:[0,0,1]
	v_pk_fma_f32 v[14:15], v[10:11], v[34:35], v[6:7] op_sel:[0,0,1] op_sel_hi:[1,0,0]
	v_accvgpr_write_b32 a121, v33
	v_accvgpr_write_b32 a120, v32
	s_waitcnt vmcnt(6)
	v_mov_b64_e32 v[34:35], v[22:23]
	v_mov_b64_e32 v[32:33], v[20:21]
	v_pk_mul_f32 v[6:7], v[4:5], v[32:33] op_sel:[0,1]
	v_mov_b32_e32 v12, v35
	v_pk_fma_f32 v[20:21], v[4:5], v[32:33], v[6:7] op_sel:[0,0,1] op_sel_hi:[1,1,0] neg_lo:[0,0,1] neg_hi:[0,0,1]
	v_pk_fma_f32 v[40:41], v[4:5], v[32:33], v[6:7] op_sel:[0,0,1] op_sel_hi:[1,0,0]
	ds_read2_b64 v[4:7], v171 offset0:64 offset1:172
	v_pk_mul_f32 v[10:11], v[8:9], v[12:13] op_sel_hi:[1,0]
	s_waitcnt vmcnt(5)
	v_accvgpr_write_b32 a110, v18
	v_pk_fma_f32 v[22:23], v[8:9], v[34:35], v[10:11] op_sel:[0,0,1] op_sel_hi:[1,1,0] neg_lo:[0,0,1] neg_hi:[0,0,1]
	v_pk_fma_f32 v[42:43], v[8:9], v[34:35], v[10:11] op_sel:[0,0,1] op_sel_hi:[1,0,0]
	s_waitcnt lgkmcnt(0)
	v_pk_mul_f32 v[8:9], v[6:7], v[16:17] op_sel:[0,1]
	s_waitcnt vmcnt(4)
	v_pk_mul_f32 v[10:11], v[4:5], v[36:37] op_sel:[0,1]
	v_pk_fma_f32 v[44:45], v[6:7], v[16:17], v[8:9] op_sel:[0,0,1] op_sel_hi:[1,1,0] neg_lo:[0,0,1] neg_hi:[0,0,1]
	v_pk_fma_f32 v[48:49], v[6:7], v[16:17], v[8:9] op_sel:[0,0,1] op_sel_hi:[1,0,0]
	ds_read2_b64 v[6:9], v178 offset0:120 offset1:228
	v_pk_fma_f32 v[52:53], v[4:5], v[36:37], v[10:11] op_sel:[0,0,1] op_sel_hi:[1,1,0] neg_lo:[0,0,1] neg_hi:[0,0,1]
	v_pk_fma_f32 v[56:57], v[4:5], v[36:37], v[10:11] op_sel:[0,0,1] op_sel_hi:[1,0,0]
	v_mov_b32_e32 v10, v19
	v_mov_b32_e32 v12, v39
	s_waitcnt lgkmcnt(0)
	v_pk_mul_f32 v[4:5], v[8:9], v[10:11] op_sel_hi:[1,0]
	v_accvgpr_write_b32 a112, v19
	v_pk_fma_f32 v[46:47], v[8:9], v[18:19], v[4:5] op_sel:[0,0,1] op_sel_hi:[1,1,0] neg_lo:[0,0,1] neg_hi:[0,0,1]
	v_pk_fma_f32 v[50:51], v[8:9], v[18:19], v[4:5] op_sel:[0,0,1] op_sel_hi:[1,0,0]
	ds_read2_b64 v[8:11], v170 offset0:104 offset1:212
	v_pk_mul_f32 v[4:5], v[6:7], v[12:13] op_sel_hi:[1,0]
	s_waitcnt vmcnt(3)
	v_accvgpr_write_b32 a98, v66
	v_pk_fma_f32 v[54:55], v[6:7], v[38:39], v[4:5] op_sel:[0,0,1] op_sel_hi:[1,1,0] neg_lo:[0,0,1] neg_hi:[0,0,1]
	v_pk_fma_f32 v[58:59], v[6:7], v[38:39], v[4:5] op_sel:[0,0,1] op_sel_hi:[1,0,0]
	s_waitcnt lgkmcnt(0)
	v_pk_mul_f32 v[4:5], v[10:11], v[64:65] op_sel:[0,1]
	s_waitcnt vmcnt(2)
	v_pk_mul_f32 v[6:7], v[8:9], v[86:87] op_sel:[0,1]
	v_pk_fma_f32 v[72:73], v[10:11], v[64:65], v[4:5] op_sel:[0,0,1] op_sel_hi:[1,1,0] neg_lo:[0,0,1] neg_hi:[0,0,1]
	v_pk_fma_f32 v[4:5], v[10:11], v[64:65], v[4:5] op_sel:[0,0,1] op_sel_hi:[1,0,0]
	v_pk_fma_f32 v[78:79], v[8:9], v[86:87], v[6:7] op_sel:[0,0,1] op_sel_hi:[1,1,0] neg_lo:[0,0,1] neg_hi:[0,0,1]
	v_mov_b32_e32 v4, v67
	v_pk_fma_f32 v[10:11], v[8:9], v[86:87], v[6:7] op_sel:[0,0,1] op_sel_hi:[1,0,0]
	v_pk_mul_f32 v[6:7], v[62:63], v[4:5] op_sel_hi:[1,0]
	v_accvgpr_write_b32 a97, v65
	v_pk_fma_f32 v[74:75], v[62:63], v[66:67], v[6:7] op_sel:[0,0,1] op_sel_hi:[1,1,0] neg_lo:[0,0,1] neg_hi:[0,0,1]
	v_pk_fma_f32 v[6:7], v[62:63], v[66:67], v[6:7] op_sel:[0,0,1] op_sel_hi:[1,0,0]
	v_accvgpr_write_b32 a96, v64
	ds_read2_b64 v[62:65], v183 offset0:16 offset1:124
	v_accvgpr_write_b32 a109, v17
	v_accvgpr_write_b32 a108, v16
	;; [unrolled: 1-line block ×3, first 2 shown]
	v_mov_b32_e32 v4, v89
	s_waitcnt vmcnt(1) lgkmcnt(0)
	v_pk_mul_f32 v[18:19], v[64:65], v[90:91] op_sel:[0,1]
	v_pk_mul_f32 v[16:17], v[60:61], v[4:5] op_sel_hi:[1,0]
	v_pk_fma_f32 v[106:107], v[64:65], v[90:91], v[18:19] op_sel:[0,0,1] op_sel_hi:[1,1,0] neg_lo:[0,0,1] neg_hi:[0,0,1]
	v_pk_fma_f32 v[18:19], v[64:65], v[90:91], v[18:19] op_sel:[0,0,1] op_sel_hi:[1,0,0]
	ds_read2_b64 v[64:67], v194 offset0:72 offset1:180
	v_pk_fma_f32 v[8:9], v[60:61], v[88:89], v[16:17] op_sel:[0,0,1] op_sel_hi:[1,1,0] neg_lo:[0,0,1] neg_hi:[0,0,1]
	v_pk_fma_f32 v[16:17], v[60:61], v[88:89], v[16:17] op_sel:[0,0,1] op_sel_hi:[1,0,0]
	s_waitcnt vmcnt(0)
	v_pk_mul_f32 v[60:61], v[62:63], v[174:175] op_sel:[0,1]
	v_mov_b32_e32 v4, v93
	v_pk_fma_f32 v[108:109], v[62:63], v[174:175], v[60:61] op_sel:[0,0,1] op_sel_hi:[1,1,0] neg_lo:[0,0,1] neg_hi:[0,0,1]
	v_pk_fma_f32 v[110:111], v[62:63], v[174:175], v[60:61] op_sel:[0,0,1] op_sel_hi:[1,0,0]
	s_waitcnt lgkmcnt(0)
	v_pk_mul_f32 v[60:61], v[66:67], v[4:5] op_sel_hi:[1,0]
	v_mov_b32_e32 v4, v177
	v_pk_fma_f32 v[112:113], v[66:67], v[92:93], v[60:61] op_sel:[0,0,1] op_sel_hi:[1,1,0] neg_lo:[0,0,1] neg_hi:[0,0,1]
	v_pk_fma_f32 v[114:115], v[66:67], v[92:93], v[60:61] op_sel:[0,0,1] op_sel_hi:[1,0,0]
	v_pk_mul_f32 v[60:61], v[64:65], v[4:5] op_sel_hi:[1,0]
	v_mul_lo_u16_sdwa v4, v80, s3 dst_sel:DWORD dst_unused:UNUSED_PAD src0_sel:BYTE_0 src1_sel:DWORD
	v_mul_lo_u16_sdwa v1, v188, s3 dst_sel:DWORD dst_unused:UNUSED_PAD src0_sel:BYTE_0 src1_sel:DWORD
	v_lshrrev_b16_e32 v4, 9, v4
	v_lshrrev_b16_e32 v1, 9, v1
	v_mul_lo_u16_e32 v6, 3, v4
	v_mul_lo_u16_e32 v3, 3, v1
	v_sub_u16_e32 v6, v80, v6
	v_sub_u16_e32 v3, v188, v3
	v_and_b32_e32 v6, 0xff, v6
	v_lshlrev_b32_e32 v9, 4, v6
	v_and_b32_e32 v3, 0xff, v3
	v_pk_fma_f32 v[116:117], v[64:65], v[176:177], v[60:61] op_sel:[0,0,1] op_sel_hi:[1,1,0] neg_lo:[0,0,1] neg_hi:[0,0,1]
	v_pk_fma_f32 v[118:119], v[64:65], v[176:177], v[60:61] op_sel:[0,0,1] op_sel_hi:[1,0,0]
	global_load_dwordx4 v[60:63], v9, s[10:11]
	v_lshlrev_b32_e32 v9, 4, v3
	global_load_dwordx4 v[64:67], v9, s[10:11]
	v_accvgpr_write_b32 a92, v88
	v_accvgpr_write_b32 a94, v89
	;; [unrolled: 1-line block ×4, first 2 shown]
	ds_read2_b64 v[86:89], v168 offset0:56 offset1:164
	v_accvgpr_write_b32 a86, v90
	v_accvgpr_write_b32 a87, v91
	;; [unrolled: 1-line block ×4, first 2 shown]
	v_mul_u32_u24_e32 v1, 9, v1
	v_add_lshl_u32 v1, v1, v3, 3
	v_mov_b32_e32 v48, v102
	v_accvgpr_write_b32 a81, v1
	v_mov_b32_e32 v109, v111
	v_mov_b32_e32 v117, v119
	v_pk_add_f32 v[110:111], v[108:109], v[116:117] neg_lo:[0,1] neg_hi:[0,1]
	v_mov_b32_e32 v107, v19
	v_pk_mul_f32 v[110:111], v[110:111], s[2:3] op_sel_hi:[1,0]
	v_mov_b32_e32 v113, v115
	v_pk_add_f32 v[18:19], v[106:107], v[112:113]
	v_mov_b32_e32 v79, v11
	v_mov_b32_e32 v9, v17
	v_pk_add_f32 v[16:17], v[78:79], v[8:9] neg_lo:[0,1] neg_hi:[0,1]
	v_mov_b32_e32 v73, v5
	v_pk_mul_f32 v[16:17], v[16:17], s[2:3] op_sel_hi:[1,0]
	v_mov_b32_e32 v75, v7
	v_mov_b32_e32 v53, v57
	;; [unrolled: 1-line block ×8, first 2 shown]
	v_accvgpr_write_b32 a116, v34
	v_accvgpr_write_b32 a104, v38
	;; [unrolled: 1-line block ×9, first 2 shown]
	v_mov_b32_e32 v50, v187
	s_waitcnt vmcnt(1) lgkmcnt(0)
	v_pk_mul_f32 v[90:91], v[88:89], v[60:61] op_sel:[0,1]
	s_nop 0
	v_pk_fma_f32 v[120:121], v[88:89], v[60:61], v[90:91] op_sel:[0,0,1] op_sel_hi:[1,1,0] neg_lo:[0,0,1] neg_hi:[0,0,1]
	v_pk_fma_f32 v[122:123], v[88:89], v[60:61], v[90:91] op_sel:[0,0,1] op_sel_hi:[1,0,0]
	s_waitcnt vmcnt(0)
	v_pk_mul_f32 v[88:89], v[86:87], v[64:65] op_sel:[0,1]
	v_mov_b32_e32 v10, v63
	v_pk_fma_f32 v[90:91], v[86:87], v[64:65], v[88:89] op_sel:[0,0,1] op_sel_hi:[1,1,0] neg_lo:[0,0,1] neg_hi:[0,0,1]
	v_pk_fma_f32 v[92:93], v[86:87], v[64:65], v[88:89] op_sel:[0,0,1] op_sel_hi:[1,0,0]
	ds_read2_b64 v[86:89], v186 offset0:112 offset1:220
	v_mov_b32_e32 v91, v93
	v_mov_b32_e32 v121, v123
	v_accvgpr_write_b32 a132, v63
	v_accvgpr_write_b32 a130, v67
	s_waitcnt lgkmcnt(0)
	v_pk_mul_f32 v[94:95], v[88:89], v[10:11] op_sel_hi:[1,0]
	v_mov_b32_e32 v10, v67
	v_pk_fma_f32 v[124:125], v[88:89], v[62:63], v[94:95] op_sel:[0,0,1] op_sel_hi:[1,1,0] neg_lo:[0,0,1] neg_hi:[0,0,1]
	v_pk_fma_f32 v[126:127], v[88:89], v[62:63], v[94:95] op_sel:[0,0,1] op_sel_hi:[1,0,0]
	v_pk_mul_f32 v[88:89], v[86:87], v[10:11] op_sel_hi:[1,0]
	v_mov_b32_e32 v125, v127
	v_pk_fma_f32 v[94:95], v[86:87], v[66:67], v[88:89] op_sel:[0,0,1] op_sel_hi:[1,1,0] neg_lo:[0,0,1] neg_hi:[0,0,1]
	v_pk_fma_f32 v[86:87], v[86:87], v[66:67], v[88:89] op_sel:[0,0,1] op_sel_hi:[1,0,0]
	v_pk_add_f32 v[122:123], v[120:121], v[124:125]
	v_mov_b32_e32 v95, v87
	ds_read2_b64 v[86:89], v180 offset1:108
	v_mov_b32_e32 v63, v98
	v_pk_add_f32 v[10:11], v[78:79], v[8:9]
	s_waitcnt lgkmcnt(0)
	v_pk_add_f32 v[92:93], v[86:87], v[90:91]
	s_nop 0
	v_pk_add_f32 v[128:129], v[92:93], v[94:95]
	v_pk_add_f32 v[92:93], v[90:91], v[94:95]
	v_pk_add_f32 v[90:91], v[90:91], v[94:95] neg_lo:[0,1] neg_hi:[0,1]
	v_pk_fma_f32 v[86:87], v[92:93], 0.5, v[86:87] op_sel_hi:[1,0,1] neg_lo:[1,0,0] neg_hi:[1,0,0]
	v_pk_mul_f32 v[90:91], v[90:91], s[2:3] op_sel_hi:[1,0]
	v_pk_fma_f32 v[122:123], v[122:123], 0.5, v[88:89] op_sel_hi:[1,0,1] neg_lo:[1,0,0] neg_hi:[1,0,0]
	v_pk_add_f32 v[130:131], v[86:87], v[90:91] op_sel:[0,1] op_sel_hi:[1,0]
	v_pk_add_f32 v[86:87], v[86:87], v[90:91] op_sel:[0,1] op_sel_hi:[1,0] neg_lo:[0,1] neg_hi:[0,1]
	v_pk_add_f32 v[88:89], v[88:89], v[120:121]
	v_mov_b32_e32 v133, v87
	v_mov_b32_e32 v87, v131
	ds_read2_b64 v[90:93], v179 offset0:96 offset1:204
	ds_read2_b64 v[94:97], v182 offset0:136 offset1:244
	;; [unrolled: 1-line block ×4, first 2 shown]
	s_waitcnt lgkmcnt(0)
	s_barrier
	ds_write_b64 v1, v[86:87] offset:48
	v_pk_add_f32 v[86:87], v[88:89], v[124:125]
	v_pk_add_f32 v[88:89], v[120:121], v[124:125] neg_lo:[0,1] neg_hi:[0,1]
	v_mov_b32_e32 v132, v130
	v_pk_mul_f32 v[88:89], v[88:89], s[2:3] op_sel_hi:[1,0]
	ds_write2_b64 v1, v[128:129], v[132:133] offset1:3
	v_pk_add_f32 v[120:121], v[122:123], v[88:89] op_sel:[0,1] op_sel_hi:[1,0]
	v_pk_add_f32 v[88:89], v[122:123], v[88:89] op_sel:[0,1] op_sel_hi:[1,0] neg_lo:[0,1] neg_hi:[0,1]
	v_mul_u32_u24_e32 v1, 9, v4
	v_add_lshl_u32 v1, v1, v6, 3
	v_mov_b32_e32 v122, v120
	v_mov_b32_e32 v123, v89
	ds_write2_b64 v1, v[86:87], v[122:123] offset1:3
	v_pk_add_f32 v[86:87], v[108:109], v[116:117]
	v_mov_b32_e32 v89, v121
	v_pk_fma_f32 v[86:87], v[86:87], 0.5, v[102:103] op_sel_hi:[1,0,1] neg_lo:[1,0,0] neg_hi:[1,0,0]
	ds_write_b64 v1, v[88:89] offset:48
	v_pk_add_f32 v[118:119], v[86:87], v[110:111] op_sel:[0,1] op_sel_hi:[1,0] neg_lo:[0,1] neg_hi:[0,1]
	v_pk_add_f32 v[86:87], v[86:87], v[110:111] op_sel:[0,1] op_sel_hi:[1,0]
	v_accvgpr_write_b32 a85, v1
	v_pk_add_f32 v[88:89], v[102:103], v[108:109]
	v_mad_legacy_u16 v1, v28, 9, v31
	v_pk_add_f32 v[88:89], v[88:89], v[116:117]
	v_lshlrev_b32_e32 v1, 3, v1
	v_mov_b32_e32 v102, v86
	v_mov_b32_e32 v103, v119
	ds_write2_b64 v1, v[88:89], v[102:103] offset1:3
	v_pk_add_f32 v[102:103], v[106:107], v[112:113] neg_lo:[0,1] neg_hi:[0,1]
	v_pk_fma_f32 v[18:19], v[18:19], 0.5, v[104:105] op_sel_hi:[1,0,1] neg_lo:[1,0,0] neg_hi:[1,0,0]
	v_pk_mul_f32 v[102:103], v[102:103], s[2:3] op_sel_hi:[1,0]
	v_mov_b32_e32 v119, v87
	v_pk_add_f32 v[88:89], v[104:105], v[106:107]
	v_pk_add_f32 v[104:105], v[18:19], v[102:103] op_sel:[0,1] op_sel_hi:[1,0] neg_lo:[0,1] neg_hi:[0,1]
	v_pk_add_f32 v[18:19], v[18:19], v[102:103] op_sel:[0,1] op_sel_hi:[1,0]
	ds_write_b64 v1, v[118:119] offset:48
	v_accvgpr_write_b32 a89, v1
	v_mad_legacy_u16 v1, v29, 9, v30
	v_pk_add_f32 v[86:87], v[88:89], v[112:113]
	v_lshlrev_b32_e32 v1, 3, v1
	v_mov_b32_e32 v88, v18
	v_mov_b32_e32 v89, v105
	v_pk_fma_f32 v[10:11], v[10:11], 0.5, v[98:99] op_sel_hi:[1,0,1] neg_lo:[1,0,0] neg_hi:[1,0,0]
	v_mov_b32_e32 v105, v19
	ds_write2_b64 v1, v[86:87], v[88:89] offset1:3
	v_pk_add_f32 v[86:87], v[10:11], v[16:17] op_sel:[0,1] op_sel_hi:[1,0] neg_lo:[0,1] neg_hi:[0,1]
	v_pk_add_f32 v[10:11], v[10:11], v[16:17] op_sel:[0,1] op_sel_hi:[1,0]
	ds_write_b64 v1, v[104:105] offset:48
	v_accvgpr_write_b32 a93, v1
	v_pk_add_f32 v[16:17], v[98:99], v[78:79]
	v_mad_legacy_u16 v1, v26, 9, v27
	v_pk_add_f32 v[8:9], v[16:17], v[8:9]
	v_lshlrev_b32_e32 v1, 3, v1
	v_mov_b32_e32 v16, v10
	v_mov_b32_e32 v17, v87
	ds_write2_b64 v1, v[8:9], v[16:17] offset1:3
	v_pk_add_f32 v[4:5], v[72:73], v[74:75]
	v_pk_add_f32 v[8:9], v[72:73], v[74:75] neg_lo:[0,1] neg_hi:[0,1]
	v_pk_fma_f32 v[4:5], v[4:5], 0.5, v[100:101] op_sel_hi:[1,0,1] neg_lo:[1,0,0] neg_hi:[1,0,0]
	v_pk_mul_f32 v[8:9], v[8:9], s[2:3] op_sel_hi:[1,0]
	v_mov_b32_e32 v87, v11
	v_pk_add_f32 v[6:7], v[100:101], v[72:73]
	v_pk_add_f32 v[16:17], v[4:5], v[8:9] op_sel:[0,1] op_sel_hi:[1,0] neg_lo:[0,1] neg_hi:[0,1]
	v_pk_add_f32 v[4:5], v[4:5], v[8:9] op_sel:[0,1] op_sel_hi:[1,0]
	ds_write_b64 v1, v[86:87] offset:48
	v_accvgpr_write_b32 a95, v1
	v_mad_legacy_u16 v1, v24, 9, v25
	v_pk_add_f32 v[6:7], v[6:7], v[74:75]
	v_lshlrev_b32_e32 v1, 3, v1
	v_mov_b32_e32 v8, v4
	v_mov_b32_e32 v9, v17
	ds_write2_b64 v1, v[6:7], v[8:9] offset1:3
	v_pk_add_f32 v[6:7], v[52:53], v[54:55]
	v_pk_add_f32 v[8:9], v[52:53], v[54:55] neg_lo:[0,1] neg_hi:[0,1]
	v_pk_fma_f32 v[6:7], v[6:7], 0.5, v[94:95] op_sel_hi:[1,0,1] neg_lo:[1,0,0] neg_hi:[1,0,0]
	v_pk_mul_f32 v[8:9], v[8:9], s[2:3] op_sel_hi:[1,0]
	v_mov_b32_e32 v17, v5
	v_pk_add_f32 v[10:11], v[6:7], v[8:9] op_sel:[0,1] op_sel_hi:[1,0] neg_lo:[0,1] neg_hi:[0,1]
	v_pk_add_f32 v[6:7], v[6:7], v[8:9] op_sel:[0,1] op_sel_hi:[1,0]
	ds_write_b64 v1, v[16:17] offset:48
	v_accvgpr_write_b32 a99, v1
	v_pk_add_f32 v[4:5], v[94:95], v[52:53]
	v_mad_legacy_u16 v1, v84, 9, v85
	v_pk_add_f32 v[4:5], v[4:5], v[54:55]
	v_lshlrev_b32_e32 v1, 3, v1
	v_mov_b32_e32 v8, v6
	v_mov_b32_e32 v9, v11
	ds_write2_b64 v1, v[4:5], v[8:9] offset1:3
	v_pk_add_f32 v[4:5], v[44:45], v[46:47]
	v_pk_add_f32 v[16:17], v[44:45], v[46:47] neg_lo:[0,1] neg_hi:[0,1]
	v_pk_fma_f32 v[4:5], v[4:5], 0.5, v[96:97] op_sel_hi:[1,0,1] neg_lo:[1,0,0] neg_hi:[1,0,0]
	v_pk_mul_f32 v[16:17], v[16:17], s[2:3] op_sel_hi:[1,0]
	v_mov_b32_e32 v11, v7
	v_pk_add_f32 v[8:9], v[96:97], v[44:45]
	v_pk_add_f32 v[18:19], v[4:5], v[16:17] op_sel:[0,1] op_sel_hi:[1,0] neg_lo:[0,1] neg_hi:[0,1]
	v_pk_add_f32 v[4:5], v[4:5], v[16:17] op_sel:[0,1] op_sel_hi:[1,0]
	ds_write_b64 v1, v[10:11] offset:48
	v_accvgpr_write_b32 a101, v1
	v_mad_legacy_u16 v1, v82, 9, v83
	v_pk_add_f32 v[6:7], v[8:9], v[46:47]
	v_lshlrev_b32_e32 v1, 3, v1
	v_mov_b32_e32 v8, v4
	v_mov_b32_e32 v9, v19
	ds_write2_b64 v1, v[6:7], v[8:9] offset1:3
	v_pk_add_f32 v[6:7], v[20:21], v[22:23]
	v_pk_add_f32 v[8:9], v[20:21], v[22:23] neg_lo:[0,1] neg_hi:[0,1]
	v_pk_fma_f32 v[6:7], v[6:7], 0.5, v[90:91] op_sel_hi:[1,0,1] neg_lo:[1,0,0] neg_hi:[1,0,0]
	v_pk_mul_f32 v[8:9], v[8:9], s[2:3] op_sel_hi:[1,0]
	v_mov_b32_e32 v19, v5
	v_pk_add_f32 v[10:11], v[6:7], v[8:9] op_sel:[0,1] op_sel_hi:[1,0] neg_lo:[0,1] neg_hi:[0,1]
	v_pk_add_f32 v[6:7], v[6:7], v[8:9] op_sel:[0,1] op_sel_hi:[1,0]
	ds_write_b64 v1, v[18:19] offset:48
	v_accvgpr_write_b32 a105, v1
	v_pk_add_f32 v[4:5], v[90:91], v[20:21]
	v_mad_legacy_u16 v1, v77, 9, v81
	v_pk_add_f32 v[4:5], v[4:5], v[22:23]
	v_lshlrev_b32_e32 v1, 3, v1
	v_mov_b32_e32 v8, v6
	v_mov_b32_e32 v9, v11
	ds_write2_b64 v1, v[4:5], v[8:9] offset1:3
	v_mov_b32_e32 v6, v1
	v_mov_b32_e32 v1, v15
	v_pk_add_f32 v[4:5], v[2:3], v[0:1]
	v_pk_add_f32 v[8:9], v[92:93], v[2:3]
	v_pk_add_f32 v[2:3], v[2:3], v[0:1] neg_lo:[0,1] neg_hi:[0,1]
	v_pk_fma_f32 v[4:5], v[4:5], 0.5, v[92:93] op_sel_hi:[1,0,1] neg_lo:[1,0,0] neg_hi:[1,0,0]
	v_pk_mul_f32 v[2:3], v[2:3], s[2:3] op_sel_hi:[1,0]
	v_mov_b32_e32 v11, v7
	v_pk_add_f32 v[12:13], v[4:5], v[2:3] op_sel:[0,1] op_sel_hi:[1,0] neg_lo:[0,1] neg_hi:[0,1]
	v_pk_add_f32 v[2:3], v[4:5], v[2:3] op_sel:[0,1] op_sel_hi:[1,0]
	v_mad_legacy_u16 v4, v69, 9, v71
	v_pk_add_f32 v[0:1], v[8:9], v[0:1]
	v_lshlrev_b32_e32 v67, 3, v4
	v_mov_b32_e32 v4, v2
	v_mov_b32_e32 v5, v13
	s_mov_b32 s3, 0xe38f
	ds_write_b64 v6, v[10:11] offset:48
	ds_write2_b64 v67, v[0:1], v[4:5] offset1:3
	v_mul_u32_u24_sdwa v0, v68, s3 dst_sel:DWORD dst_unused:UNUSED_PAD src0_sel:WORD_0 src1_sel:DWORD
	v_lshrrev_b32_e32 v8, 19, v0
	v_mul_lo_u16_e32 v0, 9, v8
	v_sub_u16_e32 v9, v68, v0
	v_mul_lo_u16_e32 v0, 0x48, v9
	v_mov_b32_e32 v1, v181
	v_mov_b32_e32 v13, v3
	v_lshl_add_u64 v[56:57], s[10:11], 0, v[0:1]
	ds_write_b64 v67, v[12:13] offset:48
	s_waitcnt lgkmcnt(0)
	s_barrier
	global_load_dwordx4 v[26:29], v[56:57], off offset:48
	v_mov_b32_e32 v15, 57
	v_mul_lo_u16_sdwa v0, v80, v15 dst_sel:DWORD dst_unused:UNUSED_PAD src0_sel:BYTE_0 src1_sel:DWORD
	v_lshrrev_b16_e32 v10, 9, v0
	v_mul_lo_u16_e32 v0, 9, v10
	v_sub_u16_e32 v0, v80, v0
	s_movk_i32 s3, 0x48
	v_and_b32_e32 v11, 0xff, v0
	v_mov_b64_e32 v[12:13], s[10:11]
	v_mad_u64_u32 v[0:1], s[6:7], v11, s3, v[12:13]
	global_load_dwordx4 v[18:21], v[0:1], off offset:48
	global_load_dwordx4 v[30:33], v[56:57], off offset:64
	;; [unrolled: 1-line block ×6, first 2 shown]
	ds_read2_b64 v[2:5], v63 offset0:48 offset1:156
	v_accvgpr_write_b32 a107, v6
	global_load_dwordx4 v[104:107], v[0:1], off offset:96
	v_mul_u32_u24_e32 v10, 0x5a, v10
	s_waitcnt vmcnt(7) lgkmcnt(0)
	v_pk_mul_f32 v[6:7], v[4:5], v[26:27] op_sel_hi:[1,0]
	v_mov_b32_e32 v14, v27
	v_pk_fma_f32 v[78:79], v[4:5], v[14:15], v[6:7] op_sel:[0,0,1] op_sel_hi:[1,1,0]
	v_mul_lo_u16_sdwa v14, v188, v15 dst_sel:DWORD dst_unused:UNUSED_PAD src0_sel:BYTE_0 src1_sel:DWORD
	v_pk_fma_f32 v[58:59], v[4:5], v[26:27], v[6:7] op_sel:[0,1,1] op_sel_hi:[1,1,0] neg_lo:[1,0,0] neg_hi:[1,0,0]
	ds_read2_b64 v[4:7], v168 offset0:56 offset1:164
	v_lshrrev_b16_e32 v24, 9, v14
	v_mul_lo_u16_e32 v14, 9, v24
	v_sub_u16_e32 v14, v188, v14
	v_and_b32_e32 v25, 0xff, v14
	v_mad_u64_u32 v[16:17], s[6:7], v25, s3, v[12:13]
	s_waitcnt vmcnt(6)
	v_pk_mul_f32 v[12:13], v[2:3], v[18:19] op_sel:[0,1]
	global_load_dwordx2 v[42:43], v[16:17], off offset:112
	v_pk_fma_f32 v[108:109], v[2:3], v[18:19], v[12:13] op_sel:[0,0,1] op_sel_hi:[1,1,0] neg_lo:[0,0,1] neg_hi:[0,0,1]
	v_pk_fma_f32 v[146:147], v[2:3], v[18:19], v[12:13] op_sel:[0,0,1] op_sel_hi:[1,0,0]
	s_waitcnt vmcnt(6) lgkmcnt(0)
	v_pk_mul_f32 v[2:3], v[6:7], v[30:31] op_sel_hi:[1,0]
	v_mov_b32_e32 v12, v31
	v_pk_fma_f32 v[82:83], v[6:7], v[12:13], v[2:3] op_sel:[0,0,1] op_sel_hi:[1,1,0]
	ds_read2_b64 v[12:15], v171 offset0:64 offset1:172
	v_mov_b64_e32 v[40:41], v[20:21]
	v_mov_b64_e32 v[38:39], v[18:19]
	v_pk_fma_f32 v[18:19], v[6:7], v[30:31], v[2:3] op_sel:[0,1,1] op_sel_hi:[1,1,0] neg_lo:[1,0,0] neg_hi:[1,0,0]
	s_waitcnt vmcnt(5)
	v_pk_mul_f32 v[2:3], v[4:5], v[34:35] op_sel:[0,1]
	v_mov_b32_e32 v79, v59
	v_pk_fma_f32 v[110:111], v[4:5], v[34:35], v[2:3] op_sel:[0,0,1] op_sel_hi:[1,1,0] neg_lo:[0,0,1] neg_hi:[0,0,1]
	v_pk_fma_f32 v[148:149], v[4:5], v[34:35], v[2:3] op_sel:[0,0,1] op_sel_hi:[1,0,0]
	s_waitcnt vmcnt(4) lgkmcnt(0)
	v_pk_mul_f32 v[2:3], v[14:15], v[190:191] op_sel_hi:[1,0]
	v_mov_b32_e32 v4, v191
	v_pk_fma_f32 v[84:85], v[14:15], v[4:5], v[2:3] op_sel:[0,0,1] op_sel_hi:[1,1,0]
	v_pk_fma_f32 v[14:15], v[14:15], v[190:191], v[2:3] op_sel:[0,1,1] op_sel_hi:[1,1,0] neg_lo:[1,0,0] neg_hi:[1,0,0]
	s_waitcnt vmcnt(3)
	v_pk_mul_f32 v[2:3], v[12:13], v[52:53] op_sel:[0,1]
	v_mov_b32_e32 v85, v15
	v_pk_fma_f32 v[116:117], v[12:13], v[52:53], v[2:3] op_sel:[0,0,1] op_sel_hi:[1,1,0] neg_lo:[0,0,1] neg_hi:[0,0,1]
	v_pk_fma_f32 v[150:151], v[12:13], v[52:53], v[2:3] op_sel:[0,0,1] op_sel_hi:[1,0,0]
	ds_read2_b64 v[2:5], v194 offset0:72 offset1:180
	global_load_dwordx2 v[44:45], v[56:57], off offset:112
	global_load_dwordx2 v[22:23], v[0:1], off offset:112
	s_waitcnt vmcnt(4)
	v_mov_b32_e32 v12, v73
	v_mov_b32_e32 v83, v19
	s_mov_b32 s6, 0x3f737871
	s_waitcnt lgkmcnt(0)
	v_pk_mul_f32 v[6:7], v[4:5], v[72:73] op_sel_hi:[1,0]
	s_mov_b32 s17, s6
	v_pk_fma_f32 v[86:87], v[4:5], v[12:13], v[6:7] op_sel:[0,0,1] op_sel_hi:[1,1,0]
	v_pk_fma_f32 v[12:13], v[4:5], v[72:73], v[6:7] op_sel:[0,1,1] op_sel_hi:[1,1,0] neg_lo:[1,0,0] neg_hi:[1,0,0]
	s_waitcnt vmcnt(3)
	v_pk_mul_f32 v[4:5], v[2:3], v[104:105] op_sel:[0,1]
	v_mov_b32_e32 v87, v13
	v_pk_fma_f32 v[118:119], v[2:3], v[104:105], v[4:5] op_sel:[0,0,1] op_sel_hi:[1,1,0] neg_lo:[0,0,1] neg_hi:[0,0,1]
	v_pk_fma_f32 v[152:153], v[2:3], v[104:105], v[4:5] op_sel:[0,0,1] op_sel_hi:[1,0,0]
	ds_read2_b64 v[0:3], v187 offset0:80 offset1:188
	v_mov_b32_e32 v111, v149
	v_mov_b32_e32 v117, v151
	;; [unrolled: 1-line block ×4, first 2 shown]
	v_accvgpr_write_b32 a170, v193
	s_movk_i32 s3, 0x5a
	v_mad_legacy_u16 v8, v8, s3, v9
	v_lshlrev_b32_e32 v177, 3, v8
	v_accvgpr_write_b32 a162, v55
	v_accvgpr_write_b32 a176, v75
	v_cmp_gt_u16_e32 vcc, s3, v188
	v_accvgpr_write_b32 a144, v36
	v_accvgpr_write_b32 a143, v35
	;; [unrolled: 1-line block ×3, first 2 shown]
	v_mov_b32_e32 v34, v169
	v_accvgpr_write_b32 a80, v28
	v_accvgpr_write_b32 a150, v29
	;; [unrolled: 1-line block ×4, first 2 shown]
	v_mov_b32_e32 v35, v170
	v_accvgpr_write_b32 a152, v37
	v_accvgpr_write_b32 a84, v32
	;; [unrolled: 1-line block ×9, first 2 shown]
	s_waitcnt vmcnt(2)
	v_accvgpr_write_b32 a179, v43
	v_accvgpr_write_b32 a178, v42
	s_waitcnt vmcnt(1) lgkmcnt(0)
	v_pk_mul_f32 v[4:5], v[2:3], v[44:45] op_sel_hi:[1,0]
	v_mov_b32_e32 v6, v45
	v_pk_fma_f32 v[92:93], v[2:3], v[6:7], v[4:5] op_sel:[0,0,1] op_sel_hi:[1,1,0]
	v_pk_fma_f32 v[20:21], v[2:3], v[44:45], v[4:5] op_sel:[0,1,1] op_sel_hi:[1,1,0] neg_lo:[1,0,0] neg_hi:[1,0,0]
	s_waitcnt vmcnt(0)
	v_pk_mul_f32 v[2:3], v[0:1], v[22:23] op_sel:[0,1]
	v_accvgpr_write_b32 a187, v23
	v_pk_fma_f32 v[124:125], v[0:1], v[22:23], v[2:3] op_sel:[0,0,1] op_sel_hi:[1,1,0] neg_lo:[0,0,1] neg_hi:[0,0,1]
	v_pk_fma_f32 v[4:5], v[0:1], v[22:23], v[2:3] op_sel:[0,0,1] op_sel_hi:[1,0,0]
	ds_read2_b64 v[0:3], v182 offset0:136 offset1:244
	global_load_dwordx4 v[88:91], v[16:17], off offset:48
	global_load_dwordx4 v[96:99], v[16:17], off offset:64
	v_mov_b32_e32 v4, v41
	v_accvgpr_write_b32 a186, v22
	v_mov_b32_e32 v93, v21
	s_waitcnt lgkmcnt(0)
	v_pk_mul_f32 v[6:7], v[2:3], v[4:5] op_sel_hi:[1,0]
	v_mov_b32_e32 v125, v5
	v_pk_fma_f32 v[126:127], v[2:3], v[40:41], v[6:7] op_sel:[0,0,1] op_sel_hi:[1,1,0] neg_lo:[0,0,1] neg_hi:[0,0,1]
	v_pk_fma_f32 v[6:7], v[2:3], v[40:41], v[6:7] op_sel:[0,0,1] op_sel_hi:[1,0,0]
	v_accvgpr_write_b32 a209, v45
	v_mov_b32_e32 v127, v7
	v_accvgpr_write_b32 a208, v44
	s_waitcnt vmcnt(1)
	v_mov_b32_e32 v4, v91
	v_pk_mul_f32 v[2:3], v[0:1], v[4:5] op_sel_hi:[1,0]
	v_mov_b32_e32 v4, v29
	v_pk_fma_f32 v[22:23], v[0:1], v[90:91], v[2:3] op_sel:[0,0,1] op_sel_hi:[1,1,0] neg_lo:[0,0,1] neg_hi:[0,0,1]
	v_pk_fma_f32 v[132:133], v[0:1], v[90:91], v[2:3] op_sel:[0,0,1] op_sel_hi:[1,0,0]
	ds_read2_b64 v[0:3], v179 offset0:96 offset1:204
	v_mov_b32_e32 v23, v133
	v_accvgpr_write_b32 a148, v91
	s_waitcnt vmcnt(0)
	v_accvgpr_write_b32 a156, v99
	s_waitcnt lgkmcnt(0)
	v_pk_mul_f32 v[56:57], v[0:1], v[4:5] op_sel_hi:[1,0]
	s_nop 0
	v_pk_fma_f32 v[94:95], v[0:1], v[28:29], v[56:57] op_sel:[0,0,1] op_sel_hi:[1,1,0] neg_lo:[0,0,1] neg_hi:[0,0,1]
	v_pk_fma_f32 v[56:57], v[0:1], v[28:29], v[56:57] op_sel:[0,0,1] op_sel_hi:[1,0,0]
	v_pk_mul_f32 v[0:1], v[2:3], v[96:97] op_sel:[0,1]
	v_mov_b32_e32 v4, v37
	v_pk_fma_f32 v[158:159], v[2:3], v[96:97], v[0:1] op_sel:[0,0,1] op_sel_hi:[1,1,0] neg_lo:[0,0,1] neg_hi:[0,0,1]
	v_pk_fma_f32 v[136:137], v[2:3], v[96:97], v[0:1] op_sel:[0,0,1] op_sel_hi:[1,0,0]
	ds_read2_b64 v[0:3], v183 offset0:16 offset1:124
	v_mov_b32_e32 v95, v57
	v_mov_b32_e32 v159, v137
	s_waitcnt lgkmcnt(0)
	v_pk_mul_f32 v[100:101], v[2:3], v[4:5] op_sel_hi:[1,0]
	v_mov_b32_e32 v4, v99
	v_pk_fma_f32 v[134:135], v[2:3], v[36:37], v[100:101] op_sel:[0,0,1] op_sel_hi:[1,1,0] neg_lo:[0,0,1] neg_hi:[0,0,1]
	v_pk_fma_f32 v[160:161], v[2:3], v[36:37], v[100:101] op_sel:[0,0,1] op_sel_hi:[1,0,0]
	v_pk_mul_f32 v[2:3], v[0:1], v[4:5] op_sel_hi:[1,0]
	v_mov_b32_e32 v4, v33
	v_pk_fma_f32 v[162:163], v[0:1], v[98:99], v[2:3] op_sel:[0,0,1] op_sel_hi:[1,1,0] neg_lo:[0,0,1] neg_hi:[0,0,1]
	v_pk_fma_f32 v[138:139], v[0:1], v[98:99], v[2:3] op_sel:[0,0,1] op_sel_hi:[1,0,0]
	ds_read2_b64 v[0:3], v170 offset0:104 offset1:212
	global_load_dwordx4 v[112:115], v[16:17], off offset:80
	global_load_dwordx4 v[120:123], v[16:17], off offset:96
	ds_read2_b64 v[128:131], v186 offset0:112 offset1:220
	ds_read2_b64 v[56:59], v48 offset0:88 offset1:196
	v_mov_b32_e32 v163, v139
	s_waitcnt lgkmcnt(2)
	v_pk_mul_f32 v[102:103], v[0:1], v[4:5] op_sel_hi:[1,0]
	v_mov_b32_e32 v4, v55
	v_pk_fma_f32 v[100:101], v[0:1], v[32:33], v[102:103] op_sel:[0,0,1] op_sel_hi:[1,1,0] neg_lo:[0,0,1] neg_hi:[0,0,1]
	v_pk_fma_f32 v[140:141], v[0:1], v[32:33], v[102:103] op_sel:[0,0,1] op_sel_hi:[1,0,0]
	s_waitcnt lgkmcnt(0)
	v_pk_mul_f32 v[12:13], v[58:59], v[88:89] op_sel:[0,1]
	v_mov_b32_e32 v101, v141
	v_pk_fma_f32 v[14:15], v[58:59], v[88:89], v[12:13] op_sel:[0,0,1] op_sel_hi:[1,1,0] neg_lo:[0,0,1] neg_hi:[0,0,1]
	v_pk_fma_f32 v[12:13], v[58:59], v[88:89], v[12:13] op_sel:[0,0,1] op_sel_hi:[1,0,0]
	v_mov_b32_e32 v135, v161
	v_mov_b32_e32 v15, v13
	v_pk_add_f32 v[12:13], v[22:23], v[162:163] neg_lo:[0,1] neg_hi:[0,1]
	v_mov_b32_e32 v99, v48
	s_waitcnt vmcnt(1)
	v_pk_mul_f32 v[0:1], v[2:3], v[112:113] op_sel:[0,1]
	s_nop 0
	v_pk_fma_f32 v[16:17], v[2:3], v[112:113], v[0:1] op_sel:[0,0,1] op_sel_hi:[1,1,0] neg_lo:[0,0,1] neg_hi:[0,0,1]
	v_pk_fma_f32 v[144:145], v[2:3], v[112:113], v[0:1] op_sel:[0,0,1] op_sel_hi:[1,0,0]
	ds_read2_b64 v[0:3], v189 offset0:24 offset1:132
	v_mov_b32_e32 v17, v145
	v_accvgpr_write_b32 a164, v115
	s_waitcnt lgkmcnt(0)
	v_pk_mul_f32 v[102:103], v[2:3], v[4:5] op_sel_hi:[1,0]
	v_mov_b32_e32 v4, v115
	v_pk_fma_f32 v[142:143], v[2:3], v[54:55], v[102:103] op_sel:[0,0,1] op_sel_hi:[1,1,0] neg_lo:[0,0,1] neg_hi:[0,0,1]
	v_pk_fma_f32 v[164:165], v[2:3], v[54:55], v[102:103] op_sel:[0,0,1] op_sel_hi:[1,0,0]
	v_pk_mul_f32 v[2:3], v[0:1], v[4:5] op_sel_hi:[1,0]
	s_waitcnt vmcnt(0)
	v_mov_b32_e32 v4, v123
	v_pk_fma_f32 v[166:167], v[0:1], v[114:115], v[2:3] op_sel:[0,0,1] op_sel_hi:[1,1,0] neg_lo:[0,0,1] neg_hi:[0,0,1]
	v_pk_fma_f32 v[154:155], v[0:1], v[114:115], v[2:3] op_sel:[0,0,1] op_sel_hi:[1,0,0]
	v_mov_b32_e32 v0, v193
	v_pk_mul_f32 v[2:3], v[128:129], v[0:1] op_sel_hi:[1,0]
	v_mov_b32_e32 v167, v155
	v_pk_fma_f32 v[0:1], v[128:129], v[192:193], v[2:3] op_sel:[0,0,1] op_sel_hi:[1,1,0] neg_lo:[0,0,1] neg_hi:[0,0,1]
	v_pk_fma_f32 v[156:157], v[128:129], v[192:193], v[2:3] op_sel:[0,0,1] op_sel_hi:[1,0,0]
	v_pk_mul_f32 v[2:3], v[130:131], v[120:121] op_sel:[0,1]
	v_mov_b32_e32 v1, v157
	v_pk_fma_f32 v[172:173], v[130:131], v[120:121], v[2:3] op_sel:[0,0,1] op_sel_hi:[1,1,0] neg_lo:[0,0,1] neg_hi:[0,0,1]
	v_pk_fma_f32 v[184:185], v[130:131], v[120:121], v[2:3] op_sel:[0,0,1] op_sel_hi:[1,0,0]
	ds_read2_b64 v[128:131], v169 offset0:32 offset1:140
	v_mov_b32_e32 v2, v107
	ds_read2_b64 v[154:157], v180 offset1:108
	v_mov_b32_e32 v173, v185
	v_pk_add_f32 v[132:133], v[100:101], v[0:1] neg_lo:[0,1] neg_hi:[0,1]
	s_waitcnt lgkmcnt(1)
	v_pk_mul_f32 v[102:103], v[130:131], v[2:3] op_sel_hi:[1,0]
	v_mov_b32_e32 v143, v165
	v_pk_fma_f32 v[2:3], v[130:131], v[106:107], v[102:103] op_sel:[0,0,1] op_sel_hi:[1,1,0] neg_lo:[0,0,1] neg_hi:[0,0,1]
	v_pk_fma_f32 v[204:205], v[130:131], v[106:107], v[102:103] op_sel:[0,0,1] op_sel_hi:[1,0,0]
	v_pk_mul_f32 v[102:103], v[128:129], v[4:5] op_sel_hi:[1,0]
	v_mov_b32_e32 v4, v75
	v_pk_fma_f32 v[206:207], v[128:129], v[122:123], v[102:103] op_sel:[0,0,1] op_sel_hi:[1,1,0] neg_lo:[0,0,1] neg_hi:[0,0,1]
	v_pk_fma_f32 v[208:209], v[128:129], v[122:123], v[102:103] op_sel:[0,0,1] op_sel_hi:[1,0,0]
	ds_read2_b64 v[128:131], v178 offset0:120 offset1:228
	v_mov_b32_e32 v207, v209
	v_pk_add_f32 v[18:19], v[206:207], v[166:167] neg_lo:[0,1] neg_hi:[0,1]
	v_pk_add_f32 v[20:21], v[22:23], v[206:207] neg_lo:[0,1] neg_hi:[0,1]
	v_pk_add_f32 v[12:13], v[12:13], v[18:19]
	s_waitcnt lgkmcnt(0)
	v_pk_mul_f32 v[210:211], v[128:129], v[4:5] op_sel_hi:[1,0]
	v_pk_add_f32 v[18:19], v[162:163], v[166:167]
	v_pk_fma_f32 v[102:103], v[128:129], v[74:75], v[210:211] op_sel:[0,0,1] op_sel_hi:[1,1,0] neg_lo:[0,0,1] neg_hi:[0,0,1]
	v_pk_fma_f32 v[128:129], v[128:129], v[74:75], v[210:211] op_sel:[0,0,1] op_sel_hi:[1,0,0]
	v_pk_fma_f32 v[18:19], v[18:19], 0.5, v[154:155] op_sel_hi:[1,0,1] neg_lo:[1,0,0] neg_hi:[1,0,0]
	v_pk_mul_f32 v[58:59], v[20:21], s[6:7] op_sel_hi:[1,0]
	v_pk_mul_f32 v[210:211], v[130:131], v[42:43] op_sel:[0,1]
	v_mov_b32_e32 v103, v129
	v_pk_add_f32 v[184:185], v[18:19], v[58:59] op_sel:[0,1] op_sel_hi:[1,0]
	v_pk_add_f32 v[18:19], v[18:19], v[58:59] op_sel:[0,1] op_sel_hi:[1,0] neg_lo:[0,1] neg_hi:[0,1]
	v_pk_add_f32 v[58:59], v[100:101], v[0:1]
	v_pk_fma_f32 v[212:213], v[130:131], v[42:43], v[210:211] op_sel:[0,0,1] op_sel_hi:[1,1,0] neg_lo:[0,0,1] neg_hi:[0,0,1]
	v_pk_fma_f32 v[130:131], v[130:131], v[42:43], v[210:211] op_sel:[0,0,1] op_sel_hi:[1,0,0]
	v_pk_fma_f32 v[58:59], v[58:59], 0.5, v[56:57] op_sel_hi:[1,0,1] neg_lo:[1,0,0] neg_hi:[1,0,0]
	v_pk_add_f32 v[128:129], v[94:95], v[102:103] neg_lo:[0,1] neg_hi:[0,1]
	v_mov_b32_e32 v213, v131
	v_pk_fma_f32 v[130:131], v[128:129], s[6:7], v[58:59] op_sel:[1,0,0] op_sel_hi:[0,0,1] neg_lo:[1,0,0] neg_hi:[1,0,0]
	v_pk_fma_f32 v[58:59], v[128:129], s[6:7], v[58:59] op_sel:[1,0,0] op_sel_hi:[0,0,1]
	v_pk_fma_f32 v[136:137], v[132:133], s[8:9], v[58:59] op_sel:[1,0,0] op_sel_hi:[0,0,1]
	v_pk_add_f32 v[58:59], v[84:85], v[86:87]
	v_pk_fma_f32 v[138:139], v[132:133], s[8:9], v[130:131] op_sel:[1,0,0] op_sel_hi:[0,0,1] neg_lo:[1,0,0] neg_hi:[1,0,0]
	v_pk_fma_f32 v[130:131], v[58:59], 0.5, v[78:79] op_sel_hi:[1,0,1] neg_lo:[1,0,0] neg_hi:[1,0,0]
	v_pk_add_f32 v[58:59], v[82:83], v[92:93] neg_lo:[0,1] neg_hi:[0,1]
	v_pk_add_f32 v[208:209], v[162:163], v[166:167] neg_lo:[0,1] neg_hi:[0,1]
	v_pk_fma_f32 v[144:145], v[58:59], s[6:7], v[130:131] op_sel:[1,0,0] op_sel_hi:[0,0,1]
	v_pk_fma_f32 v[140:141], v[58:59], s[6:7], v[130:131] op_sel:[1,0,0] op_sel_hi:[0,0,1] neg_lo:[1,0,0] neg_hi:[1,0,0]
	v_pk_add_f32 v[130:131], v[84:85], v[86:87] neg_lo:[0,1] neg_hi:[0,1]
	v_pk_add_f32 v[214:215], v[212:213], v[172:173] neg_lo:[0,1] neg_hi:[0,1]
	v_pk_fma_f32 v[140:141], v[130:131], s[8:9], v[140:141] op_sel:[1,0,0] op_sel_hi:[0,0,1] neg_lo:[1,0,0] neg_hi:[1,0,0]
	v_pk_fma_f32 v[144:145], v[130:131], s[8:9], v[144:145] op_sel:[1,0,0] op_sel_hi:[0,0,1]
	s_mov_b32 s9, 0xbf167918
	v_pk_mul_f32 v[210:211], v[208:209], s[8:9] op_sel_hi:[1,0]
	v_pk_add_f32 v[218:219], v[158:159], v[212:213] neg_lo:[0,1] neg_hi:[0,1]
	v_pk_add_f32 v[18:19], v[18:19], v[210:211] op_sel:[0,1] op_sel_hi:[1,0] neg_lo:[0,1] neg_hi:[0,1]
	v_pk_add_f32 v[184:185], v[184:185], v[210:211] op_sel:[0,1] op_sel_hi:[1,0]
	v_pk_add_f32 v[210:211], v[158:159], v[16:17] neg_lo:[0,1] neg_hi:[0,1]
	v_pk_mul_f32 v[222:223], v[218:219], s[6:7] op_sel_hi:[1,0]
	v_pk_add_f32 v[210:211], v[210:211], v[214:215]
	v_pk_add_f32 v[214:215], v[16:17], v[172:173]
	v_pk_mul_f32 v[20:21], v[20:21], s[8:9] op_sel_hi:[1,0]
	v_pk_fma_f32 v[214:215], v[214:215], 0.5, v[14:15] op_sel_hi:[1,0,1] neg_lo:[1,0,0] neg_hi:[1,0,0]
	v_mul_u32_u24_e32 v3, 0x5a, v24
	v_pk_add_f32 v[226:227], v[214:215], v[222:223] op_sel:[0,1] op_sel_hi:[1,0]
	v_pk_add_f32 v[214:215], v[214:215], v[222:223] op_sel:[0,1] op_sel_hi:[1,0] neg_lo:[0,1] neg_hi:[0,1]
	v_pk_add_f32 v[222:223], v[16:17], v[172:173] neg_lo:[0,1] neg_hi:[0,1]
	v_add_lshl_u32 v115, v3, v25, 3
	v_pk_mul_f32 v[228:229], v[222:223], s[8:9] op_sel_hi:[1,0]
	s_nop 0
	v_pk_add_f32 v[214:215], v[214:215], v[228:229] op_sel:[0,1] op_sel_hi:[1,0] neg_lo:[0,1] neg_hi:[0,1]
	v_pk_add_f32 v[226:227], v[226:227], v[228:229] op_sel:[0,1] op_sel_hi:[1,0]
	v_mov_b32_e32 v229, v215
	v_mov_b32_e32 v228, v226
	v_pk_fma_f32 v[228:229], v[210:211], s[12:13], v[228:229] op_sel_hi:[1,0,1]
	v_mov_b32_e32 v215, v227
	v_pk_mul_f32 v[238:239], v[228:229], s[8:9] op_sel_hi:[1,0]
	s_barrier
	v_pk_fma_f32 v[240:241], v[228:229], s[14:15], v[238:239] op_sel:[0,0,1] op_sel_hi:[1,0,0]
	v_pk_fma_f32 v[228:229], v[228:229], s[14:15], v[238:239] op_sel:[0,0,1] op_sel_hi:[1,0,0] neg_lo:[0,0,1] neg_hi:[0,0,1]
	v_pk_add_f32 v[238:239], v[14:15], v[158:159]
	v_mov_b32_e32 v241, v229
	v_pk_add_f32 v[228:229], v[154:155], v[22:23]
	v_pk_add_f32 v[238:239], v[238:239], v[16:17]
	;; [unrolled: 1-line block ×3, first 2 shown]
	v_pk_add_f32 v[162:163], v[162:163], v[22:23] neg_lo:[0,1] neg_hi:[0,1]
	v_pk_add_f32 v[228:229], v[228:229], v[166:167]
	v_pk_add_f32 v[22:23], v[22:23], v[206:207]
	v_pk_add_f32 v[166:167], v[166:167], v[206:207] neg_lo:[0,1] neg_hi:[0,1]
	v_pk_add_f32 v[16:17], v[16:17], v[158:159] neg_lo:[0,1] neg_hi:[0,1]
	v_pk_add_f32 v[162:163], v[162:163], v[166:167]
	v_pk_add_f32 v[166:167], v[158:159], v[212:213]
	v_pk_add_f32 v[158:159], v[172:173], v[212:213] neg_lo:[0,1] neg_hi:[0,1]
	v_pk_fma_f32 v[22:23], v[22:23], 0.5, v[154:155] op_sel_hi:[1,0,1] neg_lo:[1,0,0] neg_hi:[1,0,0]
	v_pk_mul_f32 v[154:155], v[208:209], s[6:7] op_sel_hi:[1,0]
	v_pk_fma_f32 v[14:15], v[166:167], 0.5, v[14:15] op_sel_hi:[1,0,1] neg_lo:[1,0,0] neg_hi:[1,0,0]
	v_pk_add_f32 v[16:17], v[16:17], v[158:159]
	v_pk_add_f32 v[158:159], v[22:23], v[154:155] op_sel:[0,1] op_sel_hi:[1,0] neg_lo:[0,1] neg_hi:[0,1]
	v_pk_add_f32 v[22:23], v[22:23], v[154:155] op_sel:[0,1] op_sel_hi:[1,0]
	v_pk_mul_f32 v[154:155], v[222:223], s[6:7] op_sel_hi:[1,0]
	v_pk_add_f32 v[22:23], v[22:23], v[20:21] op_sel:[0,1] op_sel_hi:[1,0] neg_lo:[0,1] neg_hi:[0,1]
	v_pk_add_f32 v[20:21], v[158:159], v[20:21] op_sel:[0,1] op_sel_hi:[1,0]
	v_pk_add_f32 v[158:159], v[14:15], v[154:155] op_sel:[0,1] op_sel_hi:[1,0] neg_lo:[0,1] neg_hi:[0,1]
	v_pk_add_f32 v[14:15], v[14:15], v[154:155] op_sel:[0,1] op_sel_hi:[1,0]
	v_pk_mul_f32 v[154:155], v[218:219], s[8:9] op_sel_hi:[1,0]
	v_pk_add_f32 v[238:239], v[238:239], v[172:173]
	v_pk_add_f32 v[14:15], v[14:15], v[154:155] op_sel:[0,1] op_sel_hi:[1,0] neg_lo:[0,1] neg_hi:[0,1]
	v_pk_add_f32 v[154:155], v[158:159], v[154:155] op_sel:[0,1] op_sel_hi:[1,0]
	v_mov_b32_e32 v159, v15
	v_mov_b32_e32 v158, v154
	v_pk_fma_f32 v[158:159], v[16:17], s[12:13], v[158:159] op_sel_hi:[1,0,1]
	v_mov_b32_e32 v15, v155
	v_pk_mul_f32 v[166:167], v[158:159], s[6:7] op_sel_hi:[1,0]
	v_pk_fma_f32 v[14:15], v[16:17], s[12:13], v[14:15] op_sel_hi:[1,0,1]
	v_pk_fma_f32 v[172:173], v[158:159], s[12:13], v[166:167] op_sel:[0,0,1] op_sel_hi:[1,0,0]
	v_pk_fma_f32 v[158:159], v[158:159], s[12:13], v[166:167] op_sel:[0,0,1] op_sel_hi:[1,0,0] neg_lo:[0,0,1] neg_hi:[0,0,1]
	v_pk_mul_f32 v[16:17], v[14:15], s[12:13] op_sel_hi:[1,0]
	v_mov_b32_e32 v173, v159
	v_mov_b32_e32 v158, v20
	;; [unrolled: 1-line block ×4, first 2 shown]
	v_pk_fma_f32 v[20:21], v[162:163], s[12:13], v[158:159] op_sel_hi:[1,0,1]
	v_pk_fma_f32 v[22:23], v[162:163], s[12:13], v[22:23] op_sel_hi:[1,0,1]
	v_pk_fma_f32 v[14:15], v[14:15], s[16:17], v[16:17] op_sel:[0,0,1] op_sel_hi:[1,1,0] neg_lo:[0,0,1] neg_hi:[0,0,1]
	v_pk_add_f32 v[16:17], v[20:21], v[172:173]
	v_pk_add_f32 v[154:155], v[22:23], v[14:15] op_sel:[0,1] op_sel_hi:[1,0]
	v_mov_b32_e32 v242, v184
	v_mov_b32_e32 v243, v19
	ds_write2_b64 v115, v[16:17], v[154:155] offset0:18 offset1:27
	v_mov_b32_e32 v19, v185
	v_pk_fma_f32 v[16:17], v[210:211], s[12:13], v[214:215] op_sel_hi:[1,0,1]
	v_pk_fma_f32 v[242:243], v[12:13], s[12:13], v[242:243] op_sel_hi:[1,0,1]
	;; [unrolled: 1-line block ×3, first 2 shown]
	s_mov_b32 s18, s9
	v_pk_mul_f32 v[18:19], v[16:17], s[14:15] op_sel_hi:[1,0]
	v_mov_b32_e32 v3, v205
	v_pk_fma_f32 v[16:17], v[16:17], s[18:19], v[18:19] op_sel:[0,0,1] op_sel_hi:[1,1,0] neg_lo:[0,0,1] neg_hi:[0,0,1]
	v_pk_add_f32 v[14:15], v[22:23], v[14:15] op_sel:[0,1] op_sel_hi:[1,0] neg_lo:[0,1] neg_hi:[0,1]
	v_pk_add_f32 v[154:155], v[12:13], v[16:17] op_sel:[0,1] op_sel_hi:[1,0]
	v_pk_add_f32 v[12:13], v[12:13], v[16:17] op_sel:[0,1] op_sel_hi:[1,0] neg_lo:[0,1] neg_hi:[0,1]
	v_pk_add_f32 v[4:5], v[126:127], v[134:135] neg_lo:[0,1] neg_hi:[0,1]
	v_pk_add_f32 v[6:7], v[2:3], v[142:143] neg_lo:[0,1] neg_hi:[0,1]
	v_pk_add_f32 v[228:229], v[228:229], v[206:207]
	v_pk_add_f32 v[238:239], v[238:239], v[212:213]
	ds_write2_b64 v115, v[14:15], v[12:13] offset0:72 offset1:81
	v_pk_add_f32 v[4:5], v[4:5], v[6:7]
	v_pk_add_f32 v[6:7], v[134:135], v[142:143]
	v_pk_add_f32 v[12:13], v[126:127], v[2:3] neg_lo:[0,1] neg_hi:[0,1]
	v_pk_add_f32 v[18:19], v[228:229], v[238:239] neg_lo:[0,1] neg_hi:[0,1]
	v_pk_fma_f32 v[6:7], v[6:7], 0.5, v[156:157] op_sel_hi:[1,0,1] neg_lo:[1,0,0] neg_hi:[1,0,0]
	v_pk_mul_f32 v[14:15], v[12:13], s[6:7] op_sel_hi:[1,0]
	ds_write2_b64 v115, v[154:155], v[18:19] offset0:36 offset1:45
	v_pk_add_f32 v[18:19], v[242:243], v[240:241] neg_lo:[0,1] neg_hi:[0,1]
	v_pk_add_f32 v[20:21], v[20:21], v[172:173] neg_lo:[0,1] neg_hi:[0,1]
	v_pk_add_f32 v[16:17], v[6:7], v[14:15] op_sel:[0,1] op_sel_hi:[1,0]
	v_pk_add_f32 v[6:7], v[6:7], v[14:15] op_sel:[0,1] op_sel_hi:[1,0] neg_lo:[0,1] neg_hi:[0,1]
	v_pk_add_f32 v[14:15], v[134:135], v[142:143] neg_lo:[0,1] neg_hi:[0,1]
	ds_write2_b64 v115, v[18:19], v[20:21] offset0:54 offset1:63
	v_pk_mul_f32 v[18:19], v[14:15], s[8:9] op_sel_hi:[1,0]
	v_pk_add_f32 v[20:21], v[124:125], v[118:119] neg_lo:[0,1] neg_hi:[0,1]
	v_pk_add_f32 v[6:7], v[6:7], v[18:19] op_sel:[0,1] op_sel_hi:[1,0] neg_lo:[0,1] neg_hi:[0,1]
	v_pk_add_f32 v[16:17], v[16:17], v[18:19] op_sel:[0,1] op_sel_hi:[1,0]
	v_pk_add_f32 v[18:19], v[110:111], v[116:117] neg_lo:[0,1] neg_hi:[0,1]
	v_pk_add_f32 v[22:23], v[110:111], v[124:125] neg_lo:[0,1] neg_hi:[0,1]
	v_pk_add_f32 v[18:19], v[18:19], v[20:21]
	v_pk_add_f32 v[20:21], v[116:117], v[118:119]
	v_pk_mul_f32 v[146:147], v[22:23], s[6:7] op_sel_hi:[1,0]
	v_pk_fma_f32 v[20:21], v[20:21], 0.5, v[108:109] op_sel_hi:[1,0,1] neg_lo:[1,0,0] neg_hi:[1,0,0]
	v_add_lshl_u32 v193, v10, v11, 3
	v_pk_add_f32 v[148:149], v[20:21], v[146:147] op_sel:[0,1] op_sel_hi:[1,0]
	v_pk_add_f32 v[20:21], v[20:21], v[146:147] op_sel:[0,1] op_sel_hi:[1,0] neg_lo:[0,1] neg_hi:[0,1]
	v_pk_add_f32 v[146:147], v[116:117], v[118:119] neg_lo:[0,1] neg_hi:[0,1]
	v_pk_add_f32 v[10:11], v[156:157], v[126:127]
	v_pk_mul_f32 v[150:151], v[146:147], s[8:9] op_sel_hi:[1,0]
	v_pk_add_f32 v[10:11], v[10:11], v[134:135]
	v_pk_add_f32 v[20:21], v[20:21], v[150:151] op_sel:[0,1] op_sel_hi:[1,0] neg_lo:[0,1] neg_hi:[0,1]
	v_pk_add_f32 v[148:149], v[148:149], v[150:151] op_sel:[0,1] op_sel_hi:[1,0]
	v_mov_b32_e32 v151, v21
	v_mov_b32_e32 v150, v148
	v_pk_fma_f32 v[150:151], v[18:19], s[12:13], v[150:151] op_sel_hi:[1,0,1]
	v_pk_add_f32 v[10:11], v[10:11], v[142:143]
	v_pk_mul_f32 v[152:153], v[150:151], s[8:9] op_sel_hi:[1,0]
	v_pk_add_f32 v[10:11], v[10:11], v[2:3]
	v_pk_fma_f32 v[154:155], v[150:151], s[14:15], v[152:153] op_sel:[0,0,1] op_sel_hi:[1,0,0]
	v_pk_fma_f32 v[150:151], v[150:151], s[14:15], v[152:153] op_sel:[0,0,1] op_sel_hi:[1,0,0] neg_lo:[0,0,1] neg_hi:[0,0,1]
	v_mov_b32_e32 v152, v16
	v_mov_b32_e32 v155, v151
	v_pk_add_f32 v[150:151], v[108:109], v[110:111]
	v_mov_b32_e32 v153, v7
	v_pk_add_f32 v[150:151], v[150:151], v[116:117]
	v_pk_fma_f32 v[152:153], v[4:5], s[12:13], v[152:153] op_sel_hi:[1,0,1]
	v_pk_add_f32 v[150:151], v[150:151], v[118:119]
	v_pk_add_f32 v[244:245], v[228:229], v[238:239]
	;; [unrolled: 1-line block ×6, first 2 shown]
	ds_write2_b64 v115, v[244:245], v[246:247] offset1:9
	ds_write2_b64 v193, v[158:159], v[160:161] offset1:9
	v_pk_add_f32 v[158:159], v[126:127], v[2:3]
	v_pk_add_f32 v[126:127], v[134:135], v[126:127] neg_lo:[0,1] neg_hi:[0,1]
	v_pk_add_f32 v[2:3], v[142:143], v[2:3] neg_lo:[0,1] neg_hi:[0,1]
	v_pk_fma_f32 v[156:157], v[158:159], 0.5, v[156:157] op_sel_hi:[1,0,1] neg_lo:[1,0,0] neg_hi:[1,0,0]
	v_pk_add_f32 v[2:3], v[126:127], v[2:3]
	v_pk_add_f32 v[126:127], v[110:111], v[124:125]
	v_pk_add_f32 v[110:111], v[116:117], v[110:111] neg_lo:[0,1] neg_hi:[0,1]
	v_pk_add_f32 v[116:117], v[118:119], v[124:125] neg_lo:[0,1] neg_hi:[0,1]
	v_pk_mul_f32 v[14:15], v[14:15], s[6:7] op_sel_hi:[1,0]
	v_pk_add_f32 v[110:111], v[110:111], v[116:117]
	v_pk_add_f32 v[116:117], v[156:157], v[14:15] op_sel:[0,1] op_sel_hi:[1,0] neg_lo:[0,1] neg_hi:[0,1]
	v_pk_add_f32 v[14:15], v[156:157], v[14:15] op_sel:[0,1] op_sel_hi:[1,0]
	v_pk_mul_f32 v[12:13], v[12:13], s[8:9] op_sel_hi:[1,0]
	v_pk_fma_f32 v[108:109], v[126:127], 0.5, v[108:109] op_sel_hi:[1,0,1] neg_lo:[1,0,0] neg_hi:[1,0,0]
	v_pk_add_f32 v[14:15], v[14:15], v[12:13] op_sel:[0,1] op_sel_hi:[1,0] neg_lo:[0,1] neg_hi:[0,1]
	v_pk_add_f32 v[12:13], v[116:117], v[12:13] op_sel:[0,1] op_sel_hi:[1,0]
	v_pk_mul_f32 v[116:117], v[146:147], s[6:7] op_sel_hi:[1,0]
	v_pk_mul_f32 v[22:23], v[22:23], s[8:9] op_sel_hi:[1,0]
	v_pk_add_f32 v[118:119], v[108:109], v[116:117] op_sel:[0,1] op_sel_hi:[1,0] neg_lo:[0,1] neg_hi:[0,1]
	v_pk_add_f32 v[108:109], v[108:109], v[116:117] op_sel:[0,1] op_sel_hi:[1,0]
	v_mov_b32_e32 v7, v17
	v_pk_add_f32 v[108:109], v[108:109], v[22:23] op_sel:[0,1] op_sel_hi:[1,0] neg_lo:[0,1] neg_hi:[0,1]
	v_pk_add_f32 v[22:23], v[118:119], v[22:23] op_sel:[0,1] op_sel_hi:[1,0]
	v_mov_b32_e32 v117, v109
	v_mov_b32_e32 v116, v22
	v_pk_fma_f32 v[116:117], v[110:111], s[12:13], v[116:117] op_sel_hi:[1,0,1]
	v_mov_b32_e32 v109, v23
	v_pk_mul_f32 v[118:119], v[116:117], s[6:7] op_sel_hi:[1,0]
	v_mov_b32_e32 v21, v149
	v_pk_fma_f32 v[124:125], v[116:117], s[12:13], v[118:119] op_sel:[0,0,1] op_sel_hi:[1,0,0]
	v_pk_fma_f32 v[116:117], v[116:117], s[12:13], v[118:119] op_sel:[0,0,1] op_sel_hi:[1,0,0] neg_lo:[0,0,1] neg_hi:[0,0,1]
	v_pk_fma_f32 v[4:5], v[4:5], s[12:13], v[6:7] op_sel_hi:[1,0,1]
	v_mov_b32_e32 v125, v117
	v_mov_b32_e32 v116, v12
	;; [unrolled: 1-line block ×4, first 2 shown]
	v_pk_fma_f32 v[12:13], v[2:3], s[12:13], v[116:117] op_sel_hi:[1,0,1]
	v_pk_fma_f32 v[2:3], v[2:3], s[12:13], v[14:15] op_sel_hi:[1,0,1]
	;; [unrolled: 1-line block ×4, first 2 shown]
	v_pk_mul_f32 v[22:23], v[14:15], s[12:13] op_sel_hi:[1,0]
	v_pk_mul_f32 v[16:17], v[6:7], s[14:15] op_sel_hi:[1,0]
	v_pk_fma_f32 v[14:15], v[14:15], s[16:17], v[22:23] op_sel:[0,0,1] op_sel_hi:[1,1,0] neg_lo:[0,0,1] neg_hi:[0,0,1]
	v_pk_fma_f32 v[6:7], v[6:7], s[18:19], v[16:17] op_sel:[0,0,1] op_sel_hi:[1,1,0] neg_lo:[0,0,1] neg_hi:[0,0,1]
	v_pk_add_f32 v[108:109], v[2:3], v[14:15] op_sel:[0,1] op_sel_hi:[1,0]
	v_pk_add_f32 v[16:17], v[4:5], v[6:7] op_sel:[0,1] op_sel_hi:[1,0]
	v_pk_add_f32 v[2:3], v[2:3], v[14:15] op_sel:[0,1] op_sel_hi:[1,0] neg_lo:[0,1] neg_hi:[0,1]
	v_pk_add_f32 v[4:5], v[4:5], v[6:7] op_sel:[0,1] op_sel_hi:[1,0] neg_lo:[0,1] neg_hi:[0,1]
	ds_write2_b64 v193, v[2:3], v[4:5] offset0:72 offset1:81
	v_pk_add_f32 v[2:3], v[94:95], v[100:101] neg_lo:[0,1] neg_hi:[0,1]
	v_pk_add_f32 v[4:5], v[102:103], v[0:1] neg_lo:[0,1] neg_hi:[0,1]
	v_pk_add_f32 v[6:7], v[92:93], v[86:87] neg_lo:[0,1] neg_hi:[0,1]
	v_pk_add_f32 v[2:3], v[2:3], v[4:5]
	v_pk_add_f32 v[4:5], v[82:83], v[84:85] neg_lo:[0,1] neg_hi:[0,1]
	v_pk_add_f32 v[10:11], v[10:11], v[150:151] neg_lo:[0,1] neg_hi:[0,1]
	v_pk_add_f32 v[4:5], v[4:5], v[6:7]
	v_mov_b32_e32 v6, v144
	v_mov_b32_e32 v7, v141
	v_pk_add_f32 v[22:23], v[12:13], v[124:125]
	ds_write2_b64 v193, v[16:17], v[10:11] offset0:36 offset1:45
	v_pk_add_f32 v[10:11], v[152:153], v[154:155] neg_lo:[0,1] neg_hi:[0,1]
	v_pk_add_f32 v[12:13], v[12:13], v[124:125] neg_lo:[0,1] neg_hi:[0,1]
	v_pk_fma_f32 v[6:7], v[4:5], s[12:13], v[6:7] op_sel_hi:[1,0,1]
	ds_write2_b64 v193, v[10:11], v[12:13] offset0:54 offset1:63
	v_pk_mul_f32 v[10:11], v[6:7], s[14:15] op_sel_hi:[1,0]
	v_pk_add_f32 v[12:13], v[78:79], v[82:83]
	v_pk_fma_f32 v[6:7], v[6:7], s[8:9], v[10:11] op_sel:[0,0,1] op_sel_hi:[1,1,0] neg_lo:[0,0,1] neg_hi:[0,0,1]
	v_pk_add_f32 v[10:11], v[56:57], v[94:95]
	v_pk_add_f32 v[12:13], v[12:13], v[84:85]
	;; [unrolled: 1-line block ×3, first 2 shown]
	v_mov_b32_e32 v8, v138
	v_mov_b32_e32 v9, v137
	v_pk_add_f32 v[10:11], v[10:11], v[0:1]
	v_pk_add_f32 v[12:13], v[12:13], v[86:87]
	v_mov_b32_e32 v141, v145
	v_pk_fma_f32 v[8:9], v[2:3], s[12:13], v[8:9] op_sel_hi:[1,0,1]
	v_pk_add_f32 v[10:11], v[10:11], v[102:103]
	v_pk_add_f32 v[12:13], v[12:13], v[92:93]
	v_pk_fma_f32 v[4:5], v[4:5], s[12:13], v[140:141] op_sel_hi:[1,0,1]
	v_pk_add_f32 v[14:15], v[8:9], v[6:7]
	v_pk_add_f32 v[16:17], v[10:11], v[12:13] op_sel:[0,1] op_sel_hi:[1,0] neg_lo:[0,1] neg_hi:[0,1]
	v_pk_add_f32 v[10:11], v[10:11], v[12:13] op_sel:[0,1] op_sel_hi:[1,0]
	v_pk_mul_f32 v[12:13], v[4:5], s[8:9] op_sel_hi:[1,0]
	ds_write2_b64 v193, v[22:23], v[108:109] offset0:18 offset1:27
	ds_write2_b64 v177, v[14:15], v[16:17] offset0:36 offset1:45
	v_pk_fma_f32 v[14:15], v[4:5], s[14:15], v[12:13] op_sel:[0,0,1] op_sel_hi:[1,0,0]
	v_mov_b32_e32 v137, v139
	v_pk_fma_f32 v[4:5], v[4:5], s[14:15], v[12:13] op_sel:[0,0,1] op_sel_hi:[1,0,0] neg_lo:[0,0,1] neg_hi:[0,0,1]
	v_mov_b32_e32 v12, v15
	v_pk_add_f32 v[14:15], v[82:83], v[92:93]
	v_pk_fma_f32 v[2:3], v[2:3], s[12:13], v[136:137] op_sel_hi:[1,0,1]
	v_mov_b32_e32 v13, v4
	v_pk_fma_f32 v[14:15], v[14:15], 0.5, v[78:79] op_sel_hi:[1,0,1] neg_lo:[1,0,0] neg_hi:[1,0,0]
	v_pk_add_f32 v[16:17], v[84:85], v[82:83] neg_lo:[0,1] neg_hi:[0,1]
	v_pk_add_f32 v[18:19], v[86:87], v[92:93] neg_lo:[0,1] neg_hi:[0,1]
	v_pk_add_f32 v[4:5], v[2:3], v[12:13]
	v_pk_add_f32 v[16:17], v[16:17], v[18:19]
	v_pk_fma_f32 v[18:19], v[130:131], s[6:7], v[14:15] op_sel:[1,0,0] op_sel_hi:[0,0,1] neg_lo:[1,0,0] neg_hi:[1,0,0]
	v_pk_fma_f32 v[14:15], v[130:131], s[6:7], v[14:15] op_sel:[1,0,0] op_sel_hi:[0,0,1]
	ds_write2_b64 v177, v[10:11], v[4:5] offset1:9
	v_pk_add_f32 v[4:5], v[94:95], v[102:103]
	v_pk_fma_f32 v[14:15], v[58:59], s[8:9], v[14:15] op_sel:[1,0,0] op_sel_hi:[0,0,1] neg_lo:[1,0,0] neg_hi:[1,0,0]
	v_pk_fma_f32 v[18:19], v[58:59], s[8:9], v[18:19] op_sel:[1,0,0] op_sel_hi:[0,0,1]
	v_pk_fma_f32 v[4:5], v[4:5], 0.5, v[56:57] op_sel_hi:[1,0,1] neg_lo:[1,0,0] neg_hi:[1,0,0]
	v_pk_add_f32 v[10:11], v[100:101], v[94:95] neg_lo:[0,1] neg_hi:[0,1]
	v_pk_add_f32 v[0:1], v[0:1], v[102:103] neg_lo:[0,1] neg_hi:[0,1]
	v_mov_b32_e32 v20, v18
	v_mov_b32_e32 v21, v15
	v_pk_add_f32 v[0:1], v[10:11], v[0:1]
	v_pk_fma_f32 v[10:11], v[132:133], s[6:7], v[4:5] op_sel:[1,0,0] op_sel_hi:[0,0,1]
	v_pk_fma_f32 v[4:5], v[132:133], s[6:7], v[4:5] op_sel:[1,0,0] op_sel_hi:[0,0,1] neg_lo:[1,0,0] neg_hi:[1,0,0]
	v_pk_fma_f32 v[20:21], v[16:17], s[12:13], v[20:21] op_sel_hi:[1,0,1]
	v_pk_fma_f32 v[4:5], v[128:129], s[8:9], v[4:5] op_sel:[1,0,0] op_sel_hi:[0,0,1]
	v_pk_fma_f32 v[10:11], v[128:129], s[8:9], v[10:11] op_sel:[1,0,0] op_sel_hi:[0,0,1] neg_lo:[1,0,0] neg_hi:[1,0,0]
	s_mov_b32 s7, s16
	v_pk_mul_f32 v[22:23], v[20:21], s[12:13] op_sel_hi:[1,0]
	v_mov_b32_e32 v15, v19
	v_pk_fma_f32 v[20:21], v[20:21], s[6:7], v[22:23] op_sel:[0,0,1] op_sel_hi:[1,1,0] neg_lo:[0,0,1] neg_hi:[0,0,1]
	v_mov_b32_e32 v22, v10
	v_mov_b32_e32 v23, v5
	;; [unrolled: 1-line block ×3, first 2 shown]
	v_pk_fma_f32 v[10:11], v[0:1], s[12:13], v[22:23] op_sel_hi:[1,0,1]
	v_pk_fma_f32 v[0:1], v[0:1], s[12:13], v[4:5] op_sel_hi:[1,0,1]
	;; [unrolled: 1-line block ×3, first 2 shown]
	v_pk_add_f32 v[2:3], v[2:3], v[12:13] neg_lo:[0,1] neg_hi:[0,1]
	v_pk_mul_f32 v[14:15], v[4:5], s[6:7] op_sel_hi:[1,0]
	s_movk_i32 s7, 0x2d83
	v_pk_fma_f32 v[16:17], v[4:5], s[12:13], v[14:15] op_sel:[0,0,1] op_sel_hi:[1,0,0]
	v_pk_fma_f32 v[4:5], v[4:5], s[12:13], v[14:15] op_sel:[0,0,1] op_sel_hi:[1,0,0] neg_lo:[0,0,1] neg_hi:[0,0,1]
	v_mov_b32_e32 v14, v17
	v_mov_b32_e32 v15, v4
	v_pk_add_f32 v[16:17], v[0:1], v[14:15]
	v_pk_add_f32 v[0:1], v[0:1], v[14:15] neg_lo:[0,1] neg_hi:[0,1]
	ds_write2_b64 v177, v[2:3], v[0:1] offset0:54 offset1:63
	v_pk_add_f32 v[0:1], v[8:9], v[6:7] neg_lo:[0,1] neg_hi:[0,1]
	v_pk_add_f32 v[2:3], v[10:11], v[20:21] neg_lo:[0,1] neg_hi:[0,1]
	ds_write2_b64 v177, v[2:3], v[0:1] offset0:72 offset1:81
	v_mul_u32_u24_sdwa v0, v70, s7 dst_sel:DWORD dst_unused:UNUSED_PAD src0_sel:WORD_0 src1_sel:DWORD
	v_lshrrev_b32_e32 v51, 20, v0
	v_mul_lo_u16_e32 v0, 0x5a, v51
	v_sub_u16_e32 v55, v70, v0
	v_mul_u32_u24_sdwa v0, v76, s7 dst_sel:DWORD dst_unused:UNUSED_PAD src0_sel:WORD_0 src1_sel:DWORD
	v_lshrrev_b32_e32 v43, 20, v0
	v_mul_lo_u16_e32 v0, 0x5a, v43
	v_sub_u16_e32 v47, v76, v0
	v_mul_u32_u24_sdwa v0, v68, s7 dst_sel:DWORD dst_unused:UNUSED_PAD src0_sel:WORD_0 src1_sel:DWORD
	v_lshrrev_b32_e32 v75, 20, v0
	v_mul_lo_u16_e32 v0, 0x5a, v75
	v_sub_u16_e32 v91, v68, v0
	v_mul_lo_u16_e32 v0, 40, v55
	v_mov_b32_e32 v1, v181
	v_lshl_add_u64 v[12:13], s[10:11], 0, v[0:1]
	v_mul_lo_u16_e32 v0, 40, v47
	v_pk_add_f32 v[4:5], v[10:11], v[20:21]
	v_lshl_add_u64 v[14:15], s[10:11], 0, v[0:1]
	ds_write2_b64 v177, v[16:17], v[4:5] offset0:18 offset1:27
	s_waitcnt lgkmcnt(0)
	s_barrier
	global_load_dwordx4 v[68:71], v[14:15], off offset:696
	global_load_dwordx4 v[76:79], v[14:15], off offset:712
	ds_read2_b64 v[2:5], v179 offset0:96 offset1:204
	s_movk_i32 s7, 0xb7
	s_waitcnt vmcnt(1) lgkmcnt(0)
	v_pk_mul_f32 v[0:1], v[4:5], v[68:69] op_sel_hi:[1,0]
	v_mov_b32_e32 v16, v69
	v_pk_fma_f32 v[82:83], v[4:5], v[16:17], v[0:1] op_sel:[0,0,1] op_sel_hi:[1,1,0]
	v_pk_fma_f32 v[84:85], v[4:5], v[68:69], v[0:1] op_sel:[0,1,1] op_sel_hi:[1,1,0] neg_lo:[1,0,0] neg_hi:[1,0,0]
	v_mul_lo_u16_e32 v0, 40, v91
	v_mov_b32_e32 v1, v181
	v_lshl_add_u64 v[16:17], s[10:11], 0, v[0:1]
	global_load_dwordx2 v[8:9], v[16:17], off offset:728
	global_load_dwordx4 v[92:95], v[12:13], off offset:696
	s_waitcnt vmcnt(2)
	v_mov_b32_e32 v20, v77
	v_accvgpr_write_b32 a184, v71
	v_accvgpr_write_b32 a198, v79
	v_mov_b32_e32 v83, v85
	s_waitcnt vmcnt(1)
	v_accvgpr_write_b32 a205, v9
	s_waitcnt vmcnt(0)
	v_pk_mul_f32 v[4:5], v[2:3], v[92:93] op_sel_hi:[1,0]
	v_mov_b32_e32 v0, v93
	v_pk_fma_f32 v[0:1], v[2:3], v[0:1], v[4:5] op_sel:[0,0,1] op_sel_hi:[1,1,0]
	v_pk_fma_f32 v[146:147], v[2:3], v[92:93], v[4:5] op_sel:[0,1,1] op_sel_hi:[1,1,0] neg_lo:[1,0,0] neg_hi:[1,0,0]
	ds_read2_b64 v[2:5], v189 offset0:24 offset1:132
	global_load_dwordx2 v[222:223], v[12:13], off offset:728
	global_load_dwordx4 v[108:111], v[12:13], off offset:712
	global_load_dwordx2 v[214:215], v[14:15], off offset:728
	v_mov_b32_e32 v6, v95
	v_mul_lo_u16_sdwa v1, v80, s7 dst_sel:DWORD dst_unused:UNUSED_PAD src0_sel:BYTE_0 src1_sel:DWORD
	s_waitcnt lgkmcnt(0)
	v_pk_mul_f32 v[18:19], v[4:5], v[76:77] op_sel_hi:[1,0]
	v_lshrrev_b16_e32 v1, 14, v1
	v_pk_fma_f32 v[86:87], v[4:5], v[20:21], v[18:19] op_sel:[0,0,1] op_sel_hi:[1,1,0]
	v_pk_fma_f32 v[18:19], v[4:5], v[76:77], v[18:19] op_sel:[0,1,1] op_sel_hi:[1,1,0] neg_lo:[1,0,0] neg_hi:[1,0,0]
	v_accvgpr_write_b32 a204, v8
	v_mov_b32_e32 v87, v19
	s_movk_i32 s7, 0x59
	v_accvgpr_write_b32 a154, v95
	s_waitcnt vmcnt(1)
	v_pk_mul_f32 v[4:5], v[2:3], v[108:109] op_sel_hi:[1,0]
	v_mov_b32_e32 v12, v109
	v_pk_fma_f32 v[138:139], v[2:3], v[12:13], v[4:5] op_sel:[0,0,1] op_sel_hi:[1,1,0]
	v_pk_fma_f32 v[148:149], v[2:3], v[108:109], v[4:5] op_sel:[0,1,1] op_sel_hi:[1,1,0] neg_lo:[1,0,0] neg_hi:[1,0,0]
	ds_read2_b64 v[2:5], v187 offset0:80 offset1:188
	s_waitcnt vmcnt(0)
	v_mov_b32_e32 v14, v215
	v_mov_b32_e32 v139, v149
	v_accvgpr_write_b32 a166, v111
	s_waitcnt lgkmcnt(0)
	v_pk_mul_f32 v[12:13], v[4:5], v[214:215] op_sel_hi:[1,0]
	s_nop 0
	v_pk_fma_f32 v[136:137], v[4:5], v[14:15], v[12:13] op_sel:[0,0,1] op_sel_hi:[1,1,0]
	v_pk_fma_f32 v[12:13], v[4:5], v[214:215], v[12:13] op_sel:[0,1,1] op_sel_hi:[1,1,0] neg_lo:[1,0,0] neg_hi:[1,0,0]
	v_pk_mul_f32 v[4:5], v[2:3], v[222:223] op_sel_hi:[1,0]
	v_mov_b32_e32 v12, v223
	v_pk_fma_f32 v[144:145], v[2:3], v[12:13], v[4:5] op_sel:[0,0,1] op_sel_hi:[1,1,0]
	v_pk_fma_f32 v[154:155], v[2:3], v[222:223], v[4:5] op_sel:[0,1,1] op_sel_hi:[1,1,0] neg_lo:[1,0,0] neg_hi:[1,0,0]
	ds_read2_b64 v[2:5], v183 offset0:16 offset1:124
	global_load_dwordx4 v[100:103], v[16:17], off offset:696
	global_load_dwordx4 v[116:119], v[16:17], off offset:712
	v_mov_b32_e32 v137, v13
	v_pk_add_f32 v[18:19], v[86:87], v[136:137] neg_lo:[0,1] neg_hi:[0,1]
	v_mov_b32_e32 v145, v155
	s_waitcnt lgkmcnt(0)
	v_pk_mul_f32 v[14:15], v[4:5], v[6:7] op_sel_hi:[1,0]
	v_pk_mul_f32 v[18:19], v[18:19], s[2:3] op_sel_hi:[1,0]
	v_pk_fma_f32 v[150:151], v[4:5], v[94:95], v[14:15] op_sel:[0,0,1] op_sel_hi:[1,1,0] neg_lo:[0,0,1] neg_hi:[0,0,1]
	v_pk_fma_f32 v[156:157], v[4:5], v[94:95], v[14:15] op_sel:[0,0,1] op_sel_hi:[1,0,0]
	s_waitcnt vmcnt(1)
	v_mov_b32_e32 v6, v103
	v_pk_mul_f32 v[4:5], v[2:3], v[6:7] op_sel_hi:[1,0]
	v_mov_b32_e32 v6, v111
	v_pk_fma_f32 v[160:161], v[2:3], v[102:103], v[4:5] op_sel:[0,0,1] op_sel_hi:[1,1,0] neg_lo:[0,0,1] neg_hi:[0,0,1]
	v_pk_fma_f32 v[164:165], v[2:3], v[102:103], v[4:5] op_sel:[0,0,1] op_sel_hi:[1,0,0]
	ds_read2_b64 v[2:5], v194 offset0:72 offset1:180
	v_mov_b32_e32 v12, v101
	v_mov_b32_e32 v161, v165
	s_waitcnt vmcnt(0)
	v_accvgpr_write_b32 a168, v119
	v_mov_b32_e32 v151, v157
	s_waitcnt lgkmcnt(0)
	v_pk_mul_f32 v[14:15], v[4:5], v[6:7] op_sel_hi:[1,0]
	v_mov_b32_e32 v6, v119
	v_pk_fma_f32 v[152:153], v[4:5], v[110:111], v[14:15] op_sel:[0,0,1] op_sel_hi:[1,1,0] neg_lo:[0,0,1] neg_hi:[0,0,1]
	v_pk_fma_f32 v[158:159], v[4:5], v[110:111], v[14:15] op_sel:[0,0,1] op_sel_hi:[1,0,0]
	v_pk_mul_f32 v[4:5], v[2:3], v[6:7] op_sel_hi:[1,0]
	v_mov_b32_e32 v153, v159
	v_pk_fma_f32 v[162:163], v[2:3], v[118:119], v[4:5] op_sel:[0,0,1] op_sel_hi:[1,1,0] neg_lo:[0,0,1] neg_hi:[0,0,1]
	v_pk_fma_f32 v[166:167], v[2:3], v[118:119], v[4:5] op_sel:[0,0,1] op_sel_hi:[1,0,0]
	v_mul_lo_u16_e32 v2, 0x5a, v1
	v_sub_u16_e32 v2, v80, v2
	v_and_b32_e32 v24, 0xff, v2
	ds_read2_b64 v[2:5], v182 offset0:136 offset1:244
	v_mad_u64_u32 v[16:17], s[16:17], v24, 40, s[10:11]
	v_mul_u32_u24_e32 v1, 0x21c, v1
	v_mov_b32_e32 v163, v167
	s_waitcnt lgkmcnt(0)
	v_pk_mul_f32 v[14:15], v[4:5], v[100:101] op_sel_hi:[1,0]
	v_accvgpr_write_b32 a158, v103
	v_pk_fma_f32 v[80:81], v[4:5], v[12:13], v[14:15] op_sel:[0,0,1] op_sel_hi:[1,1,0]
	v_pk_fma_f32 v[172:173], v[4:5], v[100:101], v[14:15] op_sel:[0,1,1] op_sel_hi:[1,1,0] neg_lo:[1,0,0] neg_hi:[1,0,0]
	v_add_u32_e32 v4, 0xffffffa6, v188
	v_cndmask_b32_e32 v25, v4, v188, vcc
	v_mul_hi_i32_i24_e32 v5, 40, v25
	v_mul_i32_i24_e32 v4, 40, v25
	v_lshl_add_u64 v[14:15], s[10:11], 0, v[4:5]
	global_load_dwordx2 v[226:227], v[14:15], off offset:728
	global_load_dwordx4 v[124:127], v[16:17], off offset:696
	v_mov_b32_e32 v12, v117
	v_cmp_lt_u16_e32 vcc, s7, v188
	v_mov_b32_e32 v81, v173
	s_movk_i32 s7, 0x21c
	v_mad_u64_u32 v[164:165], s[10:11], v188, 40, s[10:11]
	s_mov_b64 s[10:11], 0x21a8
	s_nop 0
	v_lshl_add_u64 v[148:149], v[164:165], 0, s[10:11]
	s_mov_b64 s[10:11], 0x10c8
	s_mov_b32 s16, 0xbf4f1bbd
	s_mov_b32 s17, s8
	s_waitcnt vmcnt(0)
	v_pk_mul_f32 v[4:5], v[2:3], v[124:125] op_sel:[0,1]
	s_nop 0
	v_pk_fma_f32 v[20:21], v[2:3], v[124:125], v[4:5] op_sel:[0,0,1] op_sel_hi:[1,1,0] neg_lo:[0,0,1] neg_hi:[0,0,1]
	v_pk_fma_f32 v[22:23], v[2:3], v[124:125], v[4:5] op_sel:[0,0,1] op_sel_hi:[1,0,0]
	ds_read2_b64 v[2:5], v171 offset0:64 offset1:172
	global_load_dwordx2 v[228:229], v[16:17], off offset:728
	global_load_dwordx4 v[132:135], v[16:17], off offset:712
	v_mov_b32_e32 v6, v127
	v_accvgpr_write_b32 a180, v127
	s_waitcnt lgkmcnt(0)
	v_pk_mul_f32 v[56:57], v[4:5], v[116:117] op_sel_hi:[1,0]
	s_nop 0
	v_pk_fma_f32 v[184:185], v[4:5], v[12:13], v[56:57] op_sel:[0,0,1] op_sel_hi:[1,1,0]
	v_pk_fma_f32 v[206:207], v[4:5], v[116:117], v[56:57] op_sel:[0,1,1] op_sel_hi:[1,1,0] neg_lo:[1,0,0] neg_hi:[1,0,0]
	v_mov_b32_e32 v12, v9
	v_mov_b32_e32 v185, v207
	s_waitcnt vmcnt(0)
	v_pk_mul_f32 v[4:5], v[2:3], v[132:133] op_sel:[0,1]
	s_nop 0
	v_pk_fma_f32 v[16:17], v[2:3], v[132:133], v[4:5] op_sel:[0,0,1] op_sel_hi:[1,1,0] neg_lo:[0,0,1] neg_hi:[0,0,1]
	v_pk_fma_f32 v[208:209], v[2:3], v[132:133], v[4:5] op_sel:[0,0,1] op_sel_hi:[1,0,0]
	ds_read2_b64 v[2:5], v178 offset0:120 offset1:228
	v_mov_b32_e32 v17, 0x21c
	v_cndmask_b32_e32 v17, 0, v17, vcc
	v_accvgpr_write_b32 a188, v135
	s_waitcnt lgkmcnt(0)
	v_pk_mul_f32 v[56:57], v[4:5], v[8:9] op_sel_hi:[1,0]
	s_nop 0
	v_pk_fma_f32 v[218:219], v[4:5], v[12:13], v[56:57] op_sel:[0,0,1] op_sel_hi:[1,1,0]
	v_pk_fma_f32 v[242:243], v[4:5], v[8:9], v[56:57] op_sel:[0,1,1] op_sel_hi:[1,1,0] neg_lo:[1,0,0] neg_hi:[1,0,0]
	v_pk_mul_f32 v[4:5], v[2:3], v[228:229] op_sel:[0,1]
	v_mov_b32_e32 v219, v243
	v_pk_fma_f32 v[244:245], v[2:3], v[228:229], v[4:5] op_sel:[0,0,1] op_sel_hi:[1,1,0] neg_lo:[0,0,1] neg_hi:[0,0,1]
	v_pk_fma_f32 v[246:247], v[2:3], v[228:229], v[4:5] op_sel:[0,0,1] op_sel_hi:[1,0,0]
	ds_read2_b64 v[2:5], v168 offset0:56 offset1:164
	global_load_dwordx4 v[128:131], v[14:15], off offset:696
	global_load_dwordx4 v[140:143], v[14:15], off offset:712
	v_mov_b32_e32 v245, v247
	s_waitcnt lgkmcnt(0)
	v_pk_mul_f32 v[56:57], v[4:5], v[6:7] op_sel_hi:[1,0]
	s_nop 0
	v_pk_fma_f32 v[248:249], v[4:5], v[126:127], v[56:57] op_sel:[0,0,1] op_sel_hi:[1,1,0] neg_lo:[0,0,1] neg_hi:[0,0,1]
	v_pk_fma_f32 v[250:251], v[4:5], v[126:127], v[56:57] op_sel:[0,0,1] op_sel_hi:[1,0,0]
	ds_read2_b64 v[56:59], v170 offset0:104 offset1:212
	v_mov_b32_e32 v249, v251
	s_waitcnt vmcnt(1)
	v_mov_b32_e32 v6, v131
	v_pk_mul_f32 v[4:5], v[2:3], v[6:7] op_sel_hi:[1,0]
	v_mov_b32_e32 v6, v135
	v_pk_fma_f32 v[14:15], v[2:3], v[130:131], v[4:5] op_sel:[0,0,1] op_sel_hi:[1,1,0] neg_lo:[0,0,1] neg_hi:[0,0,1]
	v_pk_fma_f32 v[210:211], v[2:3], v[130:131], v[4:5] op_sel:[0,0,1] op_sel_hi:[1,0,0]
	v_mov_b32_e32 v2, v71
	s_waitcnt lgkmcnt(0)
	v_pk_mul_f32 v[4:5], v[56:57], v[2:3] op_sel_hi:[1,0]
	v_mov_b32_e32 v15, v211
	v_pk_fma_f32 v[2:3], v[56:57], v[70:71], v[4:5] op_sel:[0,0,1] op_sel_hi:[1,1,0] neg_lo:[0,0,1] neg_hi:[0,0,1]
	v_pk_fma_f32 v[212:213], v[56:57], v[70:71], v[4:5] op_sel:[0,0,1] op_sel_hi:[1,0,0]
	s_waitcnt vmcnt(0)
	v_pk_mul_f32 v[4:5], v[58:59], v[140:141] op_sel:[0,1]
	v_mov_b32_e32 v3, v213
	v_pk_fma_f32 v[238:239], v[58:59], v[140:141], v[4:5] op_sel:[0,0,1] op_sel_hi:[1,1,0] neg_lo:[0,0,1] neg_hi:[0,0,1]
	v_pk_fma_f32 v[240:241], v[58:59], v[140:141], v[4:5] op_sel:[0,0,1] op_sel_hi:[1,0,0]
	ds_read2_b64 v[56:59], v186 offset0:112 offset1:220
	ds_read2_b64 v[210:213], v180 offset1:108
	v_mov_b32_e32 v239, v241
	v_add_lshl_u32 v71, v25, v17, 3
	v_accvgpr_write_b32 a190, v143
	s_waitcnt lgkmcnt(1)
	v_pk_mul_f32 v[4:5], v[58:59], v[6:7] op_sel_hi:[1,0]
	v_mov_b32_e32 v6, v143
	v_pk_fma_f32 v[252:253], v[58:59], v[134:135], v[4:5] op_sel:[0,0,1] op_sel_hi:[1,1,0] neg_lo:[0,0,1] neg_hi:[0,0,1]
	v_pk_fma_f32 v[254:255], v[58:59], v[134:135], v[4:5] op_sel:[0,0,1] op_sel_hi:[1,0,0]
	v_pk_mul_f32 v[4:5], v[56:57], v[6:7] op_sel_hi:[1,0]
	v_mov_b32_e32 v253, v255
	v_pk_fma_f32 v[6:7], v[56:57], v[142:143], v[4:5] op_sel:[0,0,1] op_sel_hi:[1,1,0] neg_lo:[0,0,1] neg_hi:[0,0,1]
	v_pk_fma_f32 v[8:9], v[56:57], v[142:143], v[4:5] op_sel:[0,0,1] op_sel_hi:[1,0,0]
	ds_read2_b64 v[56:59], v169 offset0:32 offset1:140
	v_mov_b32_e32 v4, v79
	v_mov_b32_e32 v7, v9
	s_waitcnt lgkmcnt(1)
	v_pk_add_f32 v[8:9], v[210:211], v[14:15]
	v_accvgpr_write_b32 a182, v131
	s_waitcnt lgkmcnt(0)
	v_pk_mul_f32 v[10:11], v[56:57], v[4:5] op_sel_hi:[1,0]
	v_pk_add_f32 v[8:9], v[8:9], v[6:7]
	v_pk_fma_f32 v[4:5], v[56:57], v[78:79], v[10:11] op_sel:[0,0,1] op_sel_hi:[1,1,0] neg_lo:[0,0,1] neg_hi:[0,0,1]
	v_pk_fma_f32 v[10:11], v[56:57], v[78:79], v[10:11] op_sel:[0,0,1] op_sel_hi:[1,0,0]
	v_pk_mul_f32 v[56:57], v[58:59], v[226:227] op_sel:[0,1]
	v_mov_b32_e32 v5, v11
	v_pk_fma_f32 v[216:217], v[58:59], v[226:227], v[56:57] op_sel:[0,0,1] op_sel_hi:[1,1,0] neg_lo:[0,0,1] neg_hi:[0,0,1]
	v_pk_fma_f32 v[230:231], v[58:59], v[226:227], v[56:57] op_sel:[0,0,1] op_sel_hi:[1,0,0]
	ds_read2_b64 v[56:59], v63 offset0:48 offset1:156
	v_mov_b32_e32 v217, v231
	v_add_lshl_u32 v79, v1, v24, 3
	s_waitcnt lgkmcnt(0)
	v_pk_mul_f32 v[10:11], v[58:59], v[128:129] op_sel:[0,1]
	s_nop 0
	v_pk_fma_f32 v[12:13], v[58:59], v[128:129], v[10:11] op_sel:[0,0,1] op_sel_hi:[1,1,0] neg_lo:[0,0,1] neg_hi:[0,0,1]
	v_pk_fma_f32 v[10:11], v[58:59], v[128:129], v[10:11] op_sel:[0,0,1] op_sel_hi:[1,0,0]
	s_nop 0
	v_mov_b32_e32 v13, v11
	v_pk_add_f32 v[10:11], v[14:15], v[6:7]
	v_pk_add_f32 v[6:7], v[14:15], v[6:7] neg_lo:[0,1] neg_hi:[0,1]
	v_pk_add_f32 v[14:15], v[2:3], v[4:5] neg_lo:[0,1] neg_hi:[0,1]
	v_pk_fma_f32 v[10:11], v[10:11], 0.5, v[210:211] op_sel_hi:[1,0,1] neg_lo:[1,0,0] neg_hi:[1,0,0]
	v_pk_mul_f32 v[14:15], v[14:15], s[2:3] op_sel_hi:[1,0]
	s_mov_b32 s3, 0xbf5db3d7
	v_pk_mul_f32 v[6:7], v[6:7], s[2:3] op_sel_hi:[1,0]
	v_pk_add_f32 v[210:211], v[238:239], v[216:217] neg_lo:[0,1] neg_hi:[0,1]
	v_pk_add_f32 v[58:59], v[6:7], v[10:11] op_sel:[1,0] op_sel_hi:[0,1]
	v_pk_add_f32 v[6:7], v[10:11], v[6:7] op_sel:[0,1] op_sel_hi:[1,0] neg_lo:[0,1] neg_hi:[0,1]
	v_pk_add_f32 v[10:11], v[238:239], v[216:217]
	s_nop 0
	v_pk_fma_f32 v[10:11], v[10:11], 0.5, v[12:13] op_sel_hi:[1,0,1] neg_lo:[1,0,0] neg_hi:[1,0,0]
	v_pk_add_f32 v[12:13], v[12:13], v[238:239]
	ds_read2_b64 v[238:241], v48 offset0:88 offset1:196
	v_pk_add_f32 v[12:13], v[12:13], v[216:217]
	v_pk_fma_f32 v[216:217], v[210:211], s[2:3], v[10:11] op_sel:[0,0,1] op_sel_hi:[1,0,0]
	v_pk_fma_f32 v[10:11], v[210:211], s[2:3], v[10:11] op_sel:[0,0,1] op_sel_hi:[1,0,0] neg_lo:[1,0,0] neg_hi:[1,0,0]
	v_mul_f32_e32 v21, 0xbf5db3d7, v217
	v_mul_f32_e32 v17, 0x3f5db3d7, v10
	v_fmac_f32_e32 v17, 0.5, v217
	v_fmac_f32_e32 v21, 0.5, v10
	v_add_f32_e32 v210, v58, v17
	v_add_f32_e32 v211, v7, v21
	v_pk_add_f32 v[230:231], v[8:9], v[12:13]
	v_mov_b32_e32 v10, v216
	s_waitcnt lgkmcnt(0)
	s_barrier
	ds_write2_b64 v71, v[230:231], v[210:211] offset1:90
	v_pk_mul_f32 v[210:211], v[10:11], 0.5 op_sel_hi:[1,0]
	v_pk_add_f32 v[8:9], v[8:9], v[12:13] neg_lo:[0,1] neg_hi:[0,1]
	v_pk_fma_f32 v[10:11], v[10:11], s[2:3], v[210:211] op_sel:[0,0,1] op_sel_hi:[1,1,0] neg_lo:[0,0,1] neg_hi:[0,0,1]
	v_mov_b32_e32 v12, v6
	v_mov_b32_e32 v13, v59
	v_add_u32_e32 v6, 0x400, v71
	v_pk_add_f32 v[210:211], v[12:13], v[10:11]
	ds_write2_b64 v6, v[210:211], v[8:9] offset0:52 offset1:142
	v_accvgpr_write_b32 a111, v6
	v_sub_f32_e32 v6, v58, v17
	v_sub_f32_e32 v7, v7, v21
	v_pk_add_f32 v[8:9], v[12:13], v[10:11] neg_lo:[0,1] neg_hi:[0,1]
	v_add_u32_e32 v10, 0x800, v71
	ds_write2_b64 v10, v[6:7], v[8:9] offset0:104 offset1:194
	v_accvgpr_write_b32 a113, v10
	v_pk_add_f32 v[6:7], v[248:249], v[252:253]
	v_pk_add_f32 v[10:11], v[248:249], v[252:253] neg_lo:[0,1] neg_hi:[0,1]
	v_mov_b32_e32 v17, v209
	v_pk_fma_f32 v[6:7], v[6:7], 0.5, v[212:213] op_sel_hi:[1,0,1] neg_lo:[1,0,0] neg_hi:[1,0,0]
	v_pk_mul_f32 v[10:11], v[10:11], s[2:3] op_sel_hi:[1,0]
	v_mov_b32_e32 v21, v23
	v_pk_add_f32 v[12:13], v[10:11], v[6:7] op_sel:[1,0] op_sel_hi:[0,1]
	v_pk_add_f32 v[6:7], v[6:7], v[10:11] op_sel:[0,1] op_sel_hi:[1,0] neg_lo:[0,1] neg_hi:[0,1]
	v_pk_add_f32 v[10:11], v[16:17], v[244:245]
	v_pk_add_f32 v[8:9], v[212:213], v[248:249]
	v_pk_fma_f32 v[10:11], v[10:11], 0.5, v[20:21] op_sel_hi:[1,0,1] neg_lo:[1,0,0] neg_hi:[1,0,0]
	v_pk_add_f32 v[20:21], v[20:21], v[16:17]
	v_pk_add_f32 v[16:17], v[16:17], v[244:245] neg_lo:[0,1] neg_hi:[0,1]
	v_pk_add_f32 v[8:9], v[8:9], v[252:253]
	v_pk_fma_f32 v[22:23], v[16:17], s[2:3], v[10:11] op_sel:[0,0,1] op_sel_hi:[1,0,0]
	v_pk_fma_f32 v[10:11], v[16:17], s[2:3], v[10:11] op_sel:[0,0,1] op_sel_hi:[1,0,0] neg_lo:[1,0,0] neg_hi:[1,0,0]
	v_pk_add_f32 v[20:21], v[20:21], v[244:245]
	v_mul_f32_e32 v1, 0x3f5db3d7, v10
	v_fmac_f32_e32 v1, 0.5, v23
	v_mul_f32_e32 v23, 0xbf5db3d7, v23
	v_fmac_f32_e32 v23, 0.5, v10
	v_add_f32_e32 v16, v12, v1
	v_add_f32_e32 v17, v7, v23
	v_pk_add_f32 v[58:59], v[8:9], v[20:21]
	v_mov_b32_e32 v10, v22
	ds_write2_b64 v79, v[58:59], v[16:17] offset1:90
	v_pk_mul_f32 v[16:17], v[10:11], 0.5 op_sel_hi:[1,0]
	v_pk_add_f32 v[8:9], v[8:9], v[20:21] neg_lo:[0,1] neg_hi:[0,1]
	v_pk_fma_f32 v[10:11], v[10:11], s[2:3], v[16:17] op_sel:[0,0,1] op_sel_hi:[1,1,0] neg_lo:[0,0,1] neg_hi:[0,0,1]
	v_mov_b32_e32 v16, v6
	v_mov_b32_e32 v17, v13
	v_add_u32_e32 v6, 0x400, v79
	v_pk_add_f32 v[20:21], v[16:17], v[10:11]
	ds_write2_b64 v6, v[20:21], v[8:9] offset0:52 offset1:142
	v_accvgpr_write_b32 a117, v6
	v_sub_f32_e32 v6, v12, v1
	v_sub_f32_e32 v7, v7, v23
	v_pk_add_f32 v[8:9], v[16:17], v[10:11] neg_lo:[0,1] neg_hi:[0,1]
	v_add_u32_e32 v1, 0x800, v79
	ds_write2_b64 v1, v[6:7], v[8:9] offset0:104 offset1:194
	v_pk_add_f32 v[6:7], v[160:161], v[162:163]
	v_pk_add_f32 v[8:9], v[160:161], v[162:163] neg_lo:[0,1] neg_hi:[0,1]
	v_pk_fma_f32 v[6:7], v[6:7], 0.5, v[238:239] op_sel_hi:[1,0,1] neg_lo:[1,0,0] neg_hi:[1,0,0]
	v_pk_mul_f32 v[8:9], v[8:9], s[2:3] op_sel_hi:[1,0]
	v_pk_add_f32 v[12:13], v[184:185], v[218:219] neg_lo:[0,1] neg_hi:[0,1]
	v_pk_add_f32 v[10:11], v[8:9], v[6:7] op_sel:[1,0] op_sel_hi:[0,1]
	v_pk_add_f32 v[6:7], v[6:7], v[8:9] op_sel:[0,1] op_sel_hi:[1,0] neg_lo:[0,1] neg_hi:[0,1]
	v_pk_add_f32 v[8:9], v[184:185], v[218:219]
	v_pk_mul_f32 v[12:13], v[12:13], s[2:3] op_sel_hi:[1,0]
	v_pk_fma_f32 v[8:9], v[8:9], 0.5, v[80:81] op_sel_hi:[1,0,1] neg_lo:[1,0,0] neg_hi:[1,0,0]
	v_accvgpr_write_b32 a119, v1
	v_pk_add_f32 v[16:17], v[12:13], v[8:9] op_sel:[1,0] op_sel_hi:[0,1]
	v_pk_add_f32 v[8:9], v[8:9], v[12:13] op_sel:[0,1] op_sel_hi:[1,0] neg_lo:[0,1] neg_hi:[0,1]
	v_mad_legacy_u16 v1, v75, s7, v91
	v_mul_f32_e32 v24, 0xbf5db3d7, v17
	v_lshlrev_b32_e32 v119, 3, v1
	v_mul_f32_e32 v1, 0x3f5db3d7, v8
	v_fmac_f32_e32 v24, 0.5, v8
	v_mov_b32_e32 v8, v16
	v_pk_add_f32 v[12:13], v[238:239], v[160:161]
	v_pk_add_f32 v[20:21], v[80:81], v[184:185]
	v_fmac_f32_e32 v1, 0.5, v17
	v_pk_mul_f32 v[16:17], v[8:9], 0.5 op_sel_hi:[1,0]
	v_pk_add_f32 v[12:13], v[12:13], v[162:163]
	v_pk_add_f32 v[20:21], v[20:21], v[218:219]
	v_pk_fma_f32 v[8:9], v[8:9], s[2:3], v[16:17] op_sel:[0,0,1] op_sel_hi:[1,1,0] neg_lo:[0,0,1] neg_hi:[0,0,1]
	v_mov_b32_e32 v16, v6
	v_mov_b32_e32 v17, v11
	v_add_f32_e32 v23, v7, v24
	v_pk_add_f32 v[58:59], v[12:13], v[20:21] op_sel:[0,1] op_sel_hi:[1,0]
	v_pk_add_f32 v[12:13], v[12:13], v[20:21] op_sel:[0,1] op_sel_hi:[1,0] neg_lo:[0,1] neg_hi:[0,1]
	v_pk_add_f32 v[20:21], v[16:17], v[8:9]
	v_sub_f32_e32 v6, v10, v1
	v_sub_f32_e32 v7, v7, v24
	v_pk_add_f32 v[8:9], v[16:17], v[8:9] neg_lo:[0,1] neg_hi:[0,1]
	v_add_u32_e32 v135, 0x800, v119
	v_add_f32_e32 v22, v10, v1
	ds_write2_b64 v135, v[6:7], v[8:9] offset0:104 offset1:194
	v_pk_add_f32 v[6:7], v[150:151], v[152:153]
	v_pk_add_f32 v[10:11], v[150:151], v[152:153] neg_lo:[0,1] neg_hi:[0,1]
	v_add_u32_e32 v143, 0x400, v119
	v_pk_fma_f32 v[6:7], v[6:7], 0.5, v[240:241] op_sel_hi:[1,0,1] neg_lo:[1,0,0] neg_hi:[1,0,0]
	v_pk_mul_f32 v[10:11], v[10:11], s[2:3] op_sel_hi:[1,0]
	ds_write2_b64 v143, v[20:21], v[12:13] offset0:52 offset1:142
	v_mov_b32_e32 v1, v147
	v_pk_add_f32 v[12:13], v[10:11], v[6:7] op_sel:[1,0] op_sel_hi:[0,1]
	v_pk_add_f32 v[6:7], v[6:7], v[10:11] op_sel:[0,1] op_sel_hi:[1,0] neg_lo:[0,1] neg_hi:[0,1]
	v_pk_add_f32 v[10:11], v[138:139], v[144:145]
	v_pk_add_f32 v[16:17], v[138:139], v[144:145] neg_lo:[0,1] neg_hi:[0,1]
	v_pk_fma_f32 v[10:11], v[10:11], 0.5, v[0:1] op_sel_hi:[1,0,1] neg_lo:[1,0,0] neg_hi:[1,0,0]
	v_pk_mul_f32 v[16:17], v[16:17], s[2:3] op_sel_hi:[1,0]
	v_pk_add_f32 v[8:9], v[240:241], v[150:151]
	v_pk_add_f32 v[20:21], v[16:17], v[10:11] op_sel:[1,0] op_sel_hi:[0,1]
	v_pk_add_f32 v[10:11], v[10:11], v[16:17] op_sel:[0,1] op_sel_hi:[1,0] neg_lo:[0,1] neg_hi:[0,1]
	v_pk_add_f32 v[0:1], v[0:1], v[138:139]
	v_mul_f32_e32 v24, 0x3f5db3d7, v10
	v_fmac_f32_e32 v24, 0.5, v21
	v_mul_f32_e32 v21, 0xbf5db3d7, v21
	v_pk_add_f32 v[8:9], v[8:9], v[152:153]
	v_pk_add_f32 v[0:1], v[0:1], v[144:145]
	v_mad_legacy_u16 v16, v51, s7, v55
	v_fmac_f32_e32 v21, 0.5, v10
	ds_write2_b64 v119, v[58:59], v[22:23] offset1:90
	v_lshlrev_b32_e32 v127, 3, v16
	v_add_f32_e32 v16, v12, v24
	v_add_f32_e32 v17, v7, v21
	v_pk_add_f32 v[22:23], v[8:9], v[0:1] op_sel:[0,1] op_sel_hi:[1,0]
	v_mov_b32_e32 v10, v20
	ds_write2_b64 v127, v[22:23], v[16:17] offset1:90
	v_pk_mul_f32 v[16:17], v[10:11], 0.5 op_sel_hi:[1,0]
	v_pk_add_f32 v[0:1], v[8:9], v[0:1] op_sel:[0,1] op_sel_hi:[1,0] neg_lo:[0,1] neg_hi:[0,1]
	v_pk_fma_f32 v[10:11], v[10:11], s[2:3], v[16:17] op_sel:[0,0,1] op_sel_hi:[1,1,0] neg_lo:[0,0,1] neg_hi:[0,0,1]
	v_mov_b32_e32 v8, v6
	v_mov_b32_e32 v9, v13
	v_add_u32_e32 v111, 0x400, v127
	v_pk_add_f32 v[16:17], v[8:9], v[10:11]
	ds_write2_b64 v111, v[16:17], v[0:1] offset0:52 offset1:142
	v_sub_f32_e32 v1, v7, v21
	v_pk_add_f32 v[6:7], v[8:9], v[10:11] neg_lo:[0,1] neg_hi:[0,1]
	v_pk_add_f32 v[8:9], v[86:87], v[136:137]
	v_sub_f32_e32 v0, v12, v24
	v_pk_fma_f32 v[8:9], v[8:9], 0.5, v[82:83] op_sel_hi:[1,0,1] neg_lo:[1,0,0] neg_hi:[1,0,0]
	v_add_u32_e32 v95, 0x800, v127
	v_pk_add_f32 v[10:11], v[18:19], v[8:9] op_sel:[1,0] op_sel_hi:[0,1]
	ds_write2_b64 v95, v[0:1], v[6:7] offset0:104 offset1:194
	v_pk_add_f32 v[0:1], v[2:3], v[4:5]
	v_pk_add_f32 v[2:3], v[56:57], v[2:3]
	v_pk_add_f32 v[8:9], v[8:9], v[18:19] op_sel:[0,1] op_sel_hi:[1,0] neg_lo:[0,1] neg_hi:[0,1]
	v_mul_f32_e32 v17, 0xbf5db3d7, v11
	v_pk_fma_f32 v[0:1], v[0:1], 0.5, v[56:57] op_sel_hi:[1,0,1] neg_lo:[1,0,0] neg_hi:[1,0,0]
	v_pk_add_f32 v[2:3], v[2:3], v[4:5]
	v_pk_add_f32 v[4:5], v[82:83], v[86:87]
	v_mul_f32_e32 v16, 0x3f5db3d7, v8
	v_fmac_f32_e32 v17, 0.5, v8
	v_mov_b32_e32 v8, v10
	v_pk_add_f32 v[6:7], v[14:15], v[0:1] op_sel:[1,0] op_sel_hi:[0,1]
	v_pk_add_f32 v[0:1], v[0:1], v[14:15] op_sel:[0,1] op_sel_hi:[1,0] neg_lo:[0,1] neg_hi:[0,1]
	v_pk_add_f32 v[4:5], v[4:5], v[136:137]
	v_mad_legacy_u16 v12, v43, s7, v47
	v_fmac_f32_e32 v16, 0.5, v11
	v_pk_mul_f32 v[10:11], v[8:9], 0.5 op_sel_hi:[1,0]
	v_lshlrev_b32_e32 v131, 3, v12
	v_pk_add_f32 v[14:15], v[2:3], v[4:5] op_sel:[0,1] op_sel_hi:[1,0]
	v_pk_fma_f32 v[8:9], v[8:9], s[2:3], v[10:11] op_sel:[0,0,1] op_sel_hi:[1,1,0] neg_lo:[0,0,1] neg_hi:[0,0,1]
	v_pk_add_f32 v[2:3], v[2:3], v[4:5] op_sel:[0,1] op_sel_hi:[1,0] neg_lo:[0,1] neg_hi:[0,1]
	v_mov_b32_e32 v4, v0
	v_mov_b32_e32 v5, v7
	v_add_u32_e32 v181, 0x400, v131
	v_pk_add_f32 v[10:11], v[4:5], v[8:9]
	v_add_f32_e32 v13, v1, v17
	ds_write2_b64 v181, v[10:11], v[2:3] offset0:52 offset1:142
	v_sub_f32_e32 v0, v6, v16
	v_sub_f32_e32 v1, v1, v17
	v_pk_add_f32 v[2:3], v[4:5], v[8:9] neg_lo:[0,1] neg_hi:[0,1]
	v_add_u32_e32 v103, 0x800, v131
	ds_write2_b64 v103, v[0:1], v[2:3] offset0:104 offset1:194
	v_add_co_u32_e32 v0, vcc, s22, v164
	v_add_f32_e32 v12, v6, v16
	s_nop 0
	v_addc_co_u32_e32 v1, vcc, 0, v165, vcc
	v_add_co_u32_e32 v4, vcc, s20, v164
	ds_write2_b64 v131, v[14:15], v[12:13] offset1:90
	s_waitcnt lgkmcnt(0)
	s_barrier
	v_addc_co_u32_e32 v5, vcc, 0, v165, vcc
	global_load_dwordx4 v[56:59], v[0:1], off offset:200
	global_load_dwordx4 v[80:83], v[4:5], off offset:424
	ds_read2_b64 v[0:3], v168 offset0:56 offset1:164
	v_mov_b32_e32 v75, v168
	global_load_dwordx4 v[84:87], v[148:149], off offset:16
	v_mov_b32_e32 v91, v186
	v_mov_b32_e32 v55, v178
	s_waitcnt vmcnt(2)
	v_mov_b32_e32 v8, v59
	s_waitcnt lgkmcnt(0)
	v_pk_mul_f32 v[6:7], v[0:1], v[8:9] op_sel_hi:[1,0]
	s_waitcnt vmcnt(1)
	v_mov_b32_e32 v4, v83
	v_pk_fma_f32 v[184:185], v[0:1], v[58:59], v[6:7] op_sel:[0,0,1] op_sel_hi:[1,1,0] neg_lo:[0,0,1] neg_hi:[0,0,1]
	v_pk_fma_f32 v[172:173], v[0:1], v[58:59], v[6:7] op_sel:[0,0,1] op_sel_hi:[1,0,0]
	v_pk_mul_f32 v[0:1], v[2:3], v[4:5] op_sel_hi:[1,0]
	s_waitcnt vmcnt(0)
	v_accvgpr_write_b32 a200, v87
	v_pk_fma_f32 v[254:255], v[2:3], v[82:83], v[0:1] op_sel:[0,0,1] op_sel_hi:[1,1,0] neg_lo:[0,0,1] neg_hi:[0,0,1]
	v_pk_fma_f32 v[168:169], v[2:3], v[82:83], v[0:1] op_sel:[0,0,1] op_sel_hi:[1,0,0]
	v_lshl_add_u64 v[0:1], v[164:165], 0, s[10:11]
	global_load_dwordx2 v[218:219], v[0:1], off offset:32
	global_load_dwordx4 v[144:147], v[0:1], off offset:16
	ds_read2_b64 v[2:5], v186 offset0:112 offset1:220
	s_mov_b64 s[10:11], 0x4368
	v_accvgpr_write_b32 a134, v59
	v_mov_b32_e32 v59, v183
	v_accvgpr_write_b32 a136, v83
	v_mov_b32_e32 v83, v35
	v_mov_b32_e32 v185, v173
	v_mov_b32_e32 v255, v169
	s_waitcnt vmcnt(0)
	v_mov_b32_e32 v6, v147
	s_waitcnt lgkmcnt(0)
	v_pk_mul_f32 v[0:1], v[2:3], v[6:7] op_sel_hi:[1,0]
	v_accvgpr_write_b32 a194, v147
	v_pk_fma_f32 v[230:231], v[2:3], v[146:147], v[0:1] op_sel:[0,0,1] op_sel_hi:[1,1,0] neg_lo:[0,0,1] neg_hi:[0,0,1]
	v_pk_fma_f32 v[216:217], v[2:3], v[146:147], v[0:1] op_sel:[0,0,1] op_sel_hi:[1,0,0]
	v_mov_b32_e32 v2, v87
	v_pk_mul_f32 v[0:1], v[4:5], v[2:3] op_sel_hi:[1,0]
	v_mov_b32_e32 v147, v182
	v_pk_fma_f32 v[232:233], v[4:5], v[86:87], v[0:1] op_sel:[0,0,1] op_sel_hi:[1,1,0] neg_lo:[0,0,1] neg_hi:[0,0,1]
	v_pk_fma_f32 v[16:17], v[4:5], v[86:87], v[0:1] op_sel:[0,0,1] op_sel_hi:[1,0,0]
	v_add_co_u32_e32 v0, vcc, s21, v164
	ds_read2_b64 v[2:5], v182 offset0:136 offset1:244
	s_nop 0
	v_addc_co_u32_e32 v1, vcc, 0, v165, vcc
	global_load_dwordx4 v[136:139], v[0:1], off offset:648
	v_mov_b32_e32 v87, v171
	s_waitcnt lgkmcnt(0)
	v_pk_mul_f32 v[8:9], v[2:3], v[80:81] op_sel:[0,1]
	v_mov_b32_e32 v231, v217
	v_pk_fma_f32 v[234:235], v[2:3], v[80:81], v[8:9] op_sel:[0,0,1] op_sel_hi:[1,1,0] neg_lo:[0,0,1] neg_hi:[0,0,1]
	v_pk_fma_f32 v[224:225], v[2:3], v[80:81], v[8:9] op_sel:[0,0,1] op_sel_hi:[1,0,0]
	v_lshl_add_u64 v[8:9], v[164:165], 0, s[10:11]
	global_load_dwordx4 v[160:163], v[8:9], off offset:16
	s_mov_b64 s[10:11], 0x3288
	v_mov_b32_e32 v233, v17
	v_pk_add_f32 v[16:17], v[184:185], v[230:231] neg_lo:[0,1] neg_hi:[0,1]
	v_mov_b32_e32 v235, v225
	s_waitcnt vmcnt(1)
	v_pk_mul_f32 v[0:1], v[4:5], v[136:137] op_sel:[0,1]
	s_nop 0
	v_pk_fma_f32 v[240:241], v[4:5], v[136:137], v[0:1] op_sel:[0,0,1] op_sel_hi:[1,1,0] neg_lo:[0,0,1] neg_hi:[0,0,1]
	v_pk_fma_f32 v[28:29], v[4:5], v[136:137], v[0:1] op_sel:[0,0,1] op_sel_hi:[1,0,0]
	ds_read2_b64 v[2:5], v171 offset0:64 offset1:172
	v_mov_b32_e32 v6, v139
	v_accvgpr_write_b32 a192, v139
	v_mov_b32_e32 v241, v29
	s_waitcnt vmcnt(0)
	v_accvgpr_write_b32 a210, v163
	s_waitcnt lgkmcnt(0)
	v_pk_mul_f32 v[0:1], v[2:3], v[84:85] op_sel:[0,1]
	s_nop 0
	v_pk_fma_f32 v[170:171], v[2:3], v[84:85], v[0:1] op_sel:[0,0,1] op_sel_hi:[1,1,0] neg_lo:[0,0,1] neg_hi:[0,0,1]
	v_pk_fma_f32 v[220:221], v[2:3], v[84:85], v[0:1] op_sel:[0,0,1] op_sel_hi:[1,0,0]
	v_lshl_add_u64 v[0:1], v[164:165], 0, s[10:11]
	global_load_dwordx2 v[208:209], v[0:1], off offset:32
	global_load_dwordx4 v[156:159], v[0:1], off offset:16
	global_load_dwordx2 v[206:207], v[148:149], off offset:32
	s_mov_b64 s[10:11], 0x5448
	v_mov_b32_e32 v171, v221
	s_waitcnt vmcnt(1)
	v_pk_mul_f32 v[0:1], v[4:5], v[156:157] op_sel:[0,1]
	s_nop 0
	v_pk_fma_f32 v[212:213], v[4:5], v[156:157], v[0:1] op_sel:[0,0,1] op_sel_hi:[1,1,0] neg_lo:[0,0,1] neg_hi:[0,0,1]
	v_pk_fma_f32 v[24:25], v[4:5], v[156:157], v[0:1] op_sel:[0,0,1] op_sel_hi:[1,0,0]
	ds_read2_b64 v[2:5], v178 offset0:120 offset1:228
	v_accvgpr_write_b32 a206, v159
	v_mov_b32_e32 v213, v25
	s_waitcnt vmcnt(0) lgkmcnt(0)
	v_pk_mul_f32 v[0:1], v[2:3], v[206:207] op_sel:[0,1]
	s_nop 0
	v_pk_fma_f32 v[26:27], v[2:3], v[206:207], v[0:1] op_sel:[0,0,1] op_sel_hi:[1,1,0] neg_lo:[0,0,1] neg_hi:[0,0,1]
	v_pk_fma_f32 v[186:187], v[2:3], v[206:207], v[0:1] op_sel:[0,0,1] op_sel_hi:[1,0,0]
	v_pk_mul_f32 v[0:1], v[4:5], v[208:209] op_sel:[0,1]
	v_mov_b32_e32 v27, v187
	v_pk_fma_f32 v[202:203], v[4:5], v[208:209], v[0:1] op_sel:[0,0,1] op_sel_hi:[1,1,0] neg_lo:[0,0,1] neg_hi:[0,0,1]
	v_pk_fma_f32 v[22:23], v[4:5], v[208:209], v[0:1] op_sel:[0,0,1] op_sel_hi:[1,0,0]
	v_add_co_u32_e32 v0, vcc, s15, v164
	ds_read2_b64 v[2:5], v183 offset0:16 offset1:124
	s_nop 0
	v_addc_co_u32_e32 v1, vcc, 0, v165, vcc
	global_load_dwordx4 v[148:151], v[0:1], off offset:872
	v_mov_b32_e32 v203, v23
	s_waitcnt lgkmcnt(0)
	v_pk_mul_f32 v[10:11], v[2:3], v[6:7] op_sel_hi:[1,0]
	v_mov_b32_e32 v6, v159
	v_pk_fma_f32 v[182:183], v[2:3], v[138:139], v[10:11] op_sel:[0,0,1] op_sel_hi:[1,1,0] neg_lo:[0,0,1] neg_hi:[0,0,1]
	v_pk_fma_f32 v[18:19], v[2:3], v[138:139], v[10:11] op_sel:[0,0,1] op_sel_hi:[1,0,0]
	v_mov_b32_e32 v139, v179
	v_mov_b32_e32 v183, v19
	v_pk_add_f32 v[22:23], v[170:171], v[26:27] neg_lo:[0,1] neg_hi:[0,1]
	v_pk_add_f32 v[28:29], v[212:213], v[202:203] neg_lo:[0,1] neg_hi:[0,1]
	s_mov_b32 s15, s8
	s_waitcnt vmcnt(0)
	v_mov_b32_e32 v2, v151
	v_pk_mul_f32 v[0:1], v[4:5], v[2:3] op_sel_hi:[1,0]
	s_nop 0
	v_pk_fma_f32 v[242:243], v[4:5], v[150:151], v[0:1] op_sel:[0,0,1] op_sel_hi:[1,1,0] neg_lo:[0,0,1] neg_hi:[0,0,1]
	v_pk_fma_f32 v[36:37], v[4:5], v[150:151], v[0:1] op_sel:[0,0,1] op_sel_hi:[1,0,0]
	ds_read2_b64 v[2:5], v194 offset0:72 offset1:180
	v_mov_b32_e32 v36, v194
	v_mov_b32_e32 v243, v37
	s_waitcnt lgkmcnt(0)
	v_pk_mul_f32 v[0:1], v[2:3], v[6:7] op_sel_hi:[1,0]
	s_nop 0
	v_pk_fma_f32 v[200:201], v[2:3], v[158:159], v[0:1] op_sel:[0,0,1] op_sel_hi:[1,1,0] neg_lo:[0,0,1] neg_hi:[0,0,1]
	v_pk_fma_f32 v[196:197], v[2:3], v[158:159], v[0:1] op_sel:[0,0,1] op_sel_hi:[1,0,0]
	v_mov_b32_e32 v2, v163
	v_pk_mul_f32 v[0:1], v[4:5], v[2:3] op_sel_hi:[1,0]
	v_mov_b32_e32 v159, v34
	v_pk_fma_f32 v[238:239], v[4:5], v[162:163], v[0:1] op_sel:[0,0,1] op_sel_hi:[1,1,0] neg_lo:[0,0,1] neg_hi:[0,0,1]
	v_pk_fma_f32 v[32:33], v[4:5], v[162:163], v[0:1] op_sel:[0,0,1] op_sel_hi:[1,0,0]
	v_add_co_u32_e32 v0, vcc, s13, v164
	ds_read2_b64 v[2:5], v179 offset0:96 offset1:204
	s_nop 0
	v_addc_co_u32_e32 v1, vcc, 0, v165, vcc
	global_load_dwordx4 v[152:155], v[0:1], off offset:1096
	v_mov_b32_e32 v201, v197
	s_waitcnt lgkmcnt(0)
	v_pk_mul_f32 v[10:11], v[2:3], v[148:149] op_sel:[0,1]
	v_mov_b32_e32 v239, v33
	v_pk_fma_f32 v[250:251], v[2:3], v[148:149], v[10:11] op_sel:[0,0,1] op_sel_hi:[1,1,0] neg_lo:[0,0,1] neg_hi:[0,0,1]
	v_pk_fma_f32 v[30:31], v[2:3], v[148:149], v[10:11] op_sel:[0,0,1] op_sel_hi:[1,0,0]
	v_mov_b32_e32 v163, v55
	v_mov_b32_e32 v251, v31
	;; [unrolled: 1-line block ×3, first 2 shown]
	s_waitcnt vmcnt(0)
	v_pk_mul_f32 v[0:1], v[4:5], v[152:153] op_sel:[0,1]
	s_nop 0
	v_pk_fma_f32 v[252:253], v[4:5], v[152:153], v[0:1] op_sel:[0,0,1] op_sel_hi:[1,1,0] neg_lo:[0,0,1] neg_hi:[0,0,1]
	v_pk_fma_f32 v[48:49], v[4:5], v[152:153], v[0:1] op_sel:[0,0,1] op_sel_hi:[1,0,0]
	ds_read2_b64 v[2:5], v35 offset0:104 offset1:212
	v_accvgpr_write_b32 a202, v155
	v_mov_b32_e32 v253, v49
	s_waitcnt lgkmcnt(0)
	v_pk_mul_f32 v[0:1], v[4:5], v[144:145] op_sel:[0,1]
	s_nop 0
	v_pk_fma_f32 v[38:39], v[4:5], v[144:145], v[0:1] op_sel:[0,0,1] op_sel_hi:[1,1,0] neg_lo:[0,0,1] neg_hi:[0,0,1]
	v_pk_fma_f32 v[46:47], v[4:5], v[144:145], v[0:1] op_sel:[0,0,1] op_sel_hi:[1,0,0]
	v_mov_b32_e32 v4, v155
	v_pk_mul_f32 v[0:1], v[2:3], v[4:5] op_sel_hi:[1,0]
	v_mov_b32_e32 v39, v47
	v_pk_fma_f32 v[248:249], v[2:3], v[154:155], v[0:1] op_sel:[0,0,1] op_sel_hi:[1,1,0] neg_lo:[0,0,1] neg_hi:[0,0,1]
	v_pk_fma_f32 v[44:45], v[2:3], v[154:155], v[0:1] op_sel:[0,0,1] op_sel_hi:[1,0,0]
	v_lshl_add_u64 v[0:1], v[164:165], 0, s[10:11]
	ds_read2_b64 v[2:5], v189 offset0:24 offset1:132
	global_load_dwordx2 v[210:211], v[0:1], off offset:32
	global_load_dwordx4 v[164:167], v[0:1], off offset:16
	global_load_dwordx2 v[204:205], v[8:9], off offset:32
	ds_read2_b64 v[12:15], v63 offset0:48 offset1:156
	v_mov_b32_e32 v155, v50
	s_waitcnt lgkmcnt(1)
	v_pk_mul_f32 v[10:11], v[2:3], v[160:161] op_sel:[0,1]
	v_mov_b32_e32 v249, v45
	v_pk_fma_f32 v[194:195], v[2:3], v[160:161], v[10:11] op_sel:[0,0,1] op_sel_hi:[1,1,0] neg_lo:[0,0,1] neg_hi:[0,0,1]
	v_pk_fma_f32 v[178:179], v[2:3], v[160:161], v[10:11] op_sel:[0,0,1] op_sel_hi:[1,0,0]
	s_mov_b64 s[10:11], 0x6540
	v_mov_b32_e32 v195, v179
	s_waitcnt vmcnt(1)
	v_pk_mul_f32 v[0:1], v[4:5], v[164:165] op_sel:[0,1]
	s_nop 0
	v_pk_fma_f32 v[246:247], v[4:5], v[164:165], v[0:1] op_sel:[0,0,1] op_sel_hi:[1,1,0] neg_lo:[0,0,1] neg_hi:[0,0,1]
	v_pk_fma_f32 v[42:43], v[4:5], v[164:165], v[0:1] op_sel:[0,0,1] op_sel_hi:[1,0,0]
	ds_read2_b64 v[0:3], v34 offset0:32 offset1:140
	v_mov_b32_e32 v247, v43
	v_accvgpr_write_b32 a212, v167
	s_waitcnt lgkmcnt(0)
	v_pk_mul_f32 v[10:11], v[2:3], v[218:219] op_sel:[0,1]
	s_nop 0
	v_pk_fma_f32 v[6:7], v[2:3], v[218:219], v[10:11] op_sel:[0,0,1] op_sel_hi:[1,0,0]
	v_pk_fma_f32 v[4:5], v[2:3], v[218:219], v[10:11] op_sel:[0,0,1] op_sel_hi:[1,1,0] neg_lo:[0,0,1] neg_hi:[0,0,1]
	v_mov_b32_e32 v6, v167
	v_pk_mul_f32 v[2:3], v[0:1], v[6:7] op_sel_hi:[1,0]
	v_mov_b32_e32 v5, v7
	v_pk_fma_f32 v[20:21], v[0:1], v[166:167], v[2:3] op_sel:[0,0,1] op_sel_hi:[1,1,0] neg_lo:[0,0,1] neg_hi:[0,0,1]
	v_pk_fma_f32 v[40:41], v[0:1], v[166:167], v[2:3] op_sel:[0,0,1] op_sel_hi:[1,0,0]
	ds_read2_b64 v[0:3], v50 offset0:80 offset1:188
	v_mov_b32_e32 v167, v99
	s_waitcnt vmcnt(0) lgkmcnt(0)
	v_pk_mul_f32 v[8:9], v[0:1], v[204:205] op_sel:[0,1]
	s_nop 0
	v_pk_fma_f32 v[10:11], v[0:1], v[204:205], v[8:9] op_sel:[0,0,1] op_sel_hi:[1,1,0] neg_lo:[0,0,1] neg_hi:[0,0,1]
	v_pk_fma_f32 v[8:9], v[0:1], v[204:205], v[8:9] op_sel:[0,0,1] op_sel_hi:[1,0,0]
	v_pk_mul_f32 v[0:1], v[2:3], v[210:211] op_sel:[0,1]
	s_nop 0
	v_pk_fma_f32 v[244:245], v[2:3], v[210:211], v[0:1] op_sel:[0,0,1] op_sel_hi:[1,1,0] neg_lo:[0,0,1] neg_hi:[0,0,1]
	v_pk_fma_f32 v[34:35], v[2:3], v[210:211], v[0:1] op_sel:[0,0,1] op_sel_hi:[1,0,0]
	v_pk_mul_f32 v[0:1], v[14:15], v[56:57] op_sel:[0,1]
	v_mov_b32_e32 v245, v35
	v_pk_fma_f32 v[50:51], v[14:15], v[56:57], v[0:1] op_sel:[0,0,1] op_sel_hi:[1,1,0] neg_lo:[0,0,1] neg_hi:[0,0,1]
	v_pk_fma_f32 v[0:1], v[14:15], v[56:57], v[0:1] op_sel:[0,0,1] op_sel_hi:[1,0,0]
	v_pk_add_f32 v[14:15], v[184:185], v[230:231]
	v_mov_b32_e32 v51, v1
	ds_read2_b64 v[0:3], v180 offset1:108
	v_pk_add_f32 v[46:47], v[50:51], v[38:39]
	s_waitcnt lgkmcnt(0)
	v_pk_add_f32 v[6:7], v[0:1], v[184:185]
	v_pk_fma_f32 v[0:1], v[14:15], 0.5, v[0:1] op_sel_hi:[1,0,1] neg_lo:[1,0,0] neg_hi:[1,0,0]
	v_pk_mul_f32 v[14:15], v[16:17], s[2:3] op_sel_hi:[1,0]
	v_pk_add_f32 v[46:47], v[46:47], v[4:5]
	v_pk_add_f32 v[16:17], v[14:15], v[0:1] op_sel:[1,0] op_sel_hi:[0,1]
	v_pk_add_f32 v[0:1], v[0:1], v[14:15] op_sel:[0,1] op_sel_hi:[1,0] neg_lo:[0,1] neg_hi:[0,1]
	v_pk_add_f32 v[14:15], v[38:39], v[4:5]
	v_pk_add_f32 v[4:5], v[38:39], v[4:5] neg_lo:[0,1] neg_hi:[0,1]
	v_pk_fma_f32 v[14:15], v[14:15], 0.5, v[50:51] op_sel_hi:[1,0,1] neg_lo:[1,0,0] neg_hi:[1,0,0]
	v_pk_add_f32 v[6:7], v[6:7], v[230:231]
	v_pk_fma_f32 v[38:39], v[4:5], s[2:3], v[14:15] op_sel:[0,0,1] op_sel_hi:[1,0,0]
	v_pk_fma_f32 v[4:5], v[4:5], s[2:3], v[14:15] op_sel:[0,0,1] op_sel_hi:[1,0,0] neg_lo:[1,0,0] neg_hi:[1,0,0]
	v_mul_f32_e32 v11, 0xbf5db3d7, v39
	v_mul_f32_e32 v8, 0x3f5db3d7, v4
	v_fmac_f32_e32 v8, 0.5, v39
	v_fmac_f32_e32 v11, 0.5, v4
	v_mov_b32_e32 v4, v38
	v_add_f32_e32 v14, v16, v8
	v_add_f32_e32 v15, v1, v11
	v_sub_f32_e32 v50, v16, v8
	v_sub_f32_e32 v51, v1, v11
	v_mov_b32_e32 v16, v0
	v_pk_mul_f32 v[0:1], v[4:5], 0.5 op_sel_hi:[1,0]
	v_pk_add_f32 v[38:39], v[6:7], v[46:47]
	v_pk_fma_f32 v[0:1], v[4:5], s[2:3], v[0:1] op_sel:[0,0,1] op_sel_hi:[1,1,0] neg_lo:[0,0,1] neg_hi:[0,0,1]
	v_pk_add_f32 v[46:47], v[6:7], v[46:47] neg_lo:[0,1] neg_hi:[0,1]
	v_pk_add_f32 v[4:5], v[16:17], v[0:1]
	v_pk_add_f32 v[0:1], v[16:17], v[0:1] neg_lo:[0,1] neg_hi:[0,1]
	ds_write_b64 v180, v[4:5] offset:8640
	ds_read2_b64 v[4:7], v99 offset0:88 offset1:196
	ds_write_b64 v180, v[46:47] offset:12960
	ds_write_b64 v180, v[50:51] offset:17280
	;; [unrolled: 1-line block ×4, first 2 shown]
	v_pk_add_f32 v[0:1], v[2:3], v[254:255]
	v_pk_add_f32 v[14:15], v[234:235], v[170:171]
	;; [unrolled: 1-line block ×4, first 2 shown]
	s_nop 0
	v_pk_add_f32 v[16:17], v[0:1], v[14:15]
	ds_write2_b64 v180, v[38:39], v[16:17] offset1:108
	v_pk_add_f32 v[16:17], v[254:255], v[232:233]
	v_pk_add_f32 v[0:1], v[0:1], v[14:15] neg_lo:[0,1] neg_hi:[0,1]
	v_pk_fma_f32 v[2:3], v[16:17], 0.5, v[2:3] op_sel_hi:[1,0,1] neg_lo:[1,0,0] neg_hi:[1,0,0]
	v_pk_add_f32 v[16:17], v[254:255], v[232:233] neg_lo:[0,1] neg_hi:[0,1]
	s_nop 0
	v_pk_mul_f32 v[16:17], v[16:17], s[2:3] op_sel_hi:[1,0]
	s_nop 0
	v_pk_add_f32 v[18:19], v[16:17], v[2:3] op_sel:[1,0] op_sel_hi:[0,1]
	v_pk_add_f32 v[2:3], v[2:3], v[16:17] op_sel:[0,1] op_sel_hi:[1,0] neg_lo:[0,1] neg_hi:[0,1]
	v_pk_add_f32 v[16:17], v[170:171], v[26:27]
	s_nop 0
	v_pk_fma_f32 v[16:17], v[16:17], 0.5, v[234:235] op_sel_hi:[1,0,1] neg_lo:[1,0,0] neg_hi:[1,0,0]
	s_nop 0
	v_pk_fma_f32 v[24:25], v[22:23], s[2:3], v[16:17] op_sel:[0,0,1] op_sel_hi:[1,0,0]
	v_pk_fma_f32 v[16:17], v[22:23], s[2:3], v[16:17] op_sel:[0,0,1] op_sel_hi:[1,0,0] neg_lo:[1,0,0] neg_hi:[1,0,0]
	v_mul_f32_e32 v11, 0xbf5db3d7, v25
	v_mul_f32_e32 v8, 0x3f5db3d7, v16
	v_fmac_f32_e32 v8, 0.5, v25
	v_fmac_f32_e32 v11, 0.5, v16
	v_mov_b32_e32 v16, v24
	v_add_f32_e32 v22, v18, v8
	v_add_f32_e32 v23, v3, v11
	v_sub_f32_e32 v26, v18, v8
	v_sub_f32_e32 v27, v3, v11
	v_mov_b32_e32 v18, v2
	v_pk_mul_f32 v[2:3], v[16:17], 0.5 op_sel_hi:[1,0]
	v_pk_add_f32 v[24:25], v[182:183], v[200:201] neg_lo:[0,1] neg_hi:[0,1]
	v_pk_fma_f32 v[2:3], v[16:17], s[2:3], v[2:3] op_sel:[0,0,1] op_sel_hi:[1,1,0] neg_lo:[0,0,1] neg_hi:[0,0,1]
	v_pk_mul_f32 v[24:25], v[24:25], s[2:3] op_sel_hi:[1,0]
	v_pk_add_f32 v[16:17], v[18:19], v[2:3]
	ds_write_b64 v180, v[16:17] offset:9504
	ds_write_b64 v180, v[26:27] offset:18144
	v_pk_add_f32 v[16:17], v[182:183], v[200:201]
	v_mov_b32_e32 v11, v9
	s_waitcnt lgkmcnt(7)
	v_pk_fma_f32 v[16:17], v[16:17], 0.5, v[4:5] op_sel_hi:[1,0,1] neg_lo:[1,0,0] neg_hi:[1,0,0]
	v_pk_add_f32 v[4:5], v[4:5], v[182:183]
	v_pk_add_f32 v[26:27], v[24:25], v[16:17] op_sel:[1,0] op_sel_hi:[0,1]
	v_pk_add_f32 v[16:17], v[16:17], v[24:25] op_sel:[0,1] op_sel_hi:[1,0] neg_lo:[0,1] neg_hi:[0,1]
	v_pk_add_f32 v[24:25], v[212:213], v[202:203]
	v_pk_add_f32 v[4:5], v[4:5], v[200:201]
	v_pk_fma_f32 v[24:25], v[24:25], 0.5, v[240:241] op_sel_hi:[1,0,1] neg_lo:[1,0,0] neg_hi:[1,0,0]
	v_pk_add_f32 v[8:9], v[250:251], v[194:195]
	v_pk_fma_f32 v[38:39], v[28:29], s[2:3], v[24:25] op_sel:[0,0,1] op_sel_hi:[1,0,0]
	v_pk_fma_f32 v[24:25], v[28:29], s[2:3], v[24:25] op_sel:[0,0,1] op_sel_hi:[1,0,0] neg_lo:[1,0,0] neg_hi:[1,0,0]
	v_mul_f32_e32 v30, 0xbf5db3d7, v39
	v_mul_f32_e32 v21, 0x3f5db3d7, v24
	v_fmac_f32_e32 v21, 0.5, v39
	v_fmac_f32_e32 v30, 0.5, v24
	v_add_f32_e32 v28, v26, v21
	v_add_f32_e32 v29, v17, v30
	ds_write2_b64 v147, v[22:23], v[28:29] offset0:136 offset1:244
	v_pk_add_f32 v[22:23], v[240:241], v[212:213]
	v_mov_b32_e32 v24, v38
	v_pk_add_f32 v[22:23], v[22:23], v[202:203]
	v_pk_add_f32 v[8:9], v[8:9], v[10:11]
	v_pk_add_f32 v[14:15], v[4:5], v[22:23] neg_lo:[0,1] neg_hi:[0,1]
	ds_write2_b64 v87, v[0:1], v[14:15] offset0:64 offset1:172
	v_pk_add_f32 v[0:1], v[18:19], v[2:3] neg_lo:[0,1] neg_hi:[0,1]
	v_pk_mul_f32 v[2:3], v[24:25], 0.5 op_sel_hi:[1,0]
	v_mov_b32_e32 v14, v16
	v_pk_fma_f32 v[2:3], v[24:25], s[2:3], v[2:3] op_sel:[0,0,1] op_sel_hi:[1,1,0] neg_lo:[0,0,1] neg_hi:[0,0,1]
	v_mov_b32_e32 v15, v27
	v_pk_add_f32 v[18:19], v[14:15], v[2:3] neg_lo:[0,1] neg_hi:[0,1]
	ds_write2_b64 v55, v[0:1], v[18:19] offset0:120 offset1:228
	v_pk_add_f32 v[0:1], v[4:5], v[22:23]
	v_pk_add_f32 v[4:5], v[6:7], v[242:243]
	;; [unrolled: 1-line block ×4, first 2 shown]
	s_nop 0
	v_pk_add_f32 v[18:19], v[4:5], v[8:9]
	ds_write2_b64 v99, v[0:1], v[18:19] offset0:88 offset1:196
	v_pk_add_f32 v[0:1], v[242:243], v[238:239]
	v_pk_add_f32 v[4:5], v[4:5], v[8:9] neg_lo:[0,1] neg_hi:[0,1]
	v_pk_fma_f32 v[0:1], v[0:1], 0.5, v[6:7] op_sel_hi:[1,0,1] neg_lo:[1,0,0] neg_hi:[1,0,0]
	v_pk_add_f32 v[6:7], v[242:243], v[238:239] neg_lo:[0,1] neg_hi:[0,1]
	s_nop 0
	v_pk_mul_f32 v[6:7], v[6:7], s[2:3] op_sel_hi:[1,0]
	s_nop 0
	v_pk_add_f32 v[14:15], v[6:7], v[0:1] op_sel:[1,0] op_sel_hi:[0,1]
	v_pk_add_f32 v[0:1], v[0:1], v[6:7] op_sel:[0,1] op_sel_hi:[1,0] neg_lo:[0,1] neg_hi:[0,1]
	v_pk_add_f32 v[6:7], v[194:195], v[10:11]
	v_pk_add_f32 v[10:11], v[194:195], v[10:11] neg_lo:[0,1] neg_hi:[0,1]
	v_pk_fma_f32 v[6:7], v[6:7], 0.5, v[250:251] op_sel_hi:[1,0,1] neg_lo:[1,0,0] neg_hi:[1,0,0]
	s_nop 0
	v_pk_fma_f32 v[18:19], v[10:11], s[2:3], v[6:7] op_sel:[0,0,1] op_sel_hi:[1,0,0]
	v_pk_fma_f32 v[6:7], v[10:11], s[2:3], v[6:7] op_sel:[0,0,1] op_sel_hi:[1,0,0] neg_lo:[1,0,0] neg_hi:[1,0,0]
	v_mov_b32_e32 v10, v18
	v_mov_b32_e32 v11, v7
	v_pk_mul_f32 v[22:23], v[10:11], 0.5 op_sel_hi:[1,0]
	v_mul_f32_e32 v7, 0xbf5db3d7, v19
	v_pk_fma_f32 v[10:11], v[10:11], s[2:3], v[22:23] op_sel:[0,0,1] op_sel_hi:[1,1,0] neg_lo:[0,0,1] neg_hi:[0,0,1]
	v_mov_b32_e32 v22, v0
	v_mov_b32_e32 v23, v15
	v_mul_f32_e32 v0, 0x3f5db3d7, v6
	v_pk_add_f32 v[24:25], v[22:23], v[10:11]
	v_fmac_f32_e32 v0, 0.5, v19
	v_fmac_f32_e32 v7, 0.5, v6
	ds_write2_b64 v59, v[2:3], v[24:25] offset0:16 offset1:124
	v_sub_f32_e32 v2, v26, v21
	v_sub_f32_e32 v3, v17, v30
	ds_write_b64 v180, v[4:5] offset:15552
	v_sub_f32_e32 v4, v14, v0
	v_sub_f32_e32 v5, v1, v7
	v_add_f32_e32 v1, v1, v7
	v_pk_add_f32 v[6:7], v[22:23], v[10:11] neg_lo:[0,1] neg_hi:[0,1]
	ds_write2_b64 v36, v[2:3], v[4:5] offset0:72 offset1:180
	v_mov_b32_e32 v21, v41
	v_pk_add_f32 v[4:5], v[12:13], v[248:249]
	ds_write_b64 v180, v[6:7] offset:24192
	v_pk_add_f32 v[6:7], v[252:253], v[246:247]
	v_pk_add_f32 v[4:5], v[4:5], v[20:21]
	;; [unrolled: 1-line block ×5, first 2 shown]
	ds_write_b64 v180, v[8:9] offset:3456
	v_pk_add_f32 v[8:9], v[248:249], v[20:21] neg_lo:[0,1] neg_hi:[0,1]
	v_pk_fma_f32 v[2:3], v[2:3], 0.5, v[12:13] op_sel_hi:[1,0,1] neg_lo:[1,0,0] neg_hi:[1,0,0]
	v_pk_mul_f32 v[8:9], v[8:9], s[2:3] op_sel_hi:[1,0]
	v_pk_add_f32 v[12:13], v[246:247], v[244:245] neg_lo:[0,1] neg_hi:[0,1]
	v_pk_add_f32 v[10:11], v[8:9], v[2:3] op_sel:[1,0] op_sel_hi:[0,1]
	v_pk_add_f32 v[2:3], v[2:3], v[8:9] op_sel:[0,1] op_sel_hi:[1,0] neg_lo:[0,1] neg_hi:[0,1]
	v_pk_add_f32 v[8:9], v[246:247], v[244:245]
	v_add_f32_e32 v0, v14, v0
	v_pk_fma_f32 v[8:9], v[8:9], 0.5, v[252:253] op_sel_hi:[1,0,1] neg_lo:[1,0,0] neg_hi:[1,0,0]
	v_pk_add_f32 v[4:5], v[4:5], v[6:7] neg_lo:[0,1] neg_hi:[0,1]
	v_pk_fma_f32 v[14:15], v[12:13], s[2:3], v[8:9] op_sel:[0,0,1] op_sel_hi:[1,0,0]
	v_pk_fma_f32 v[8:9], v[12:13], s[2:3], v[8:9] op_sel:[0,0,1] op_sel_hi:[1,0,0] neg_lo:[1,0,0] neg_hi:[1,0,0]
	v_mov_b32_e32 v247, v59
	v_mul_f32_e32 v16, 0x3f5db3d7, v8
	v_fmac_f32_e32 v16, 0.5, v15
	v_mul_f32_e32 v15, 0xbf5db3d7, v15
	v_fmac_f32_e32 v15, 0.5, v8
	v_add_f32_e32 v12, v10, v16
	v_add_f32_e32 v13, v3, v15
	v_mov_b32_e32 v8, v14
	ds_write2_b64 v139, v[0:1], v[12:13] offset0:96 offset1:204
	v_sub_f32_e32 v0, v10, v16
	v_sub_f32_e32 v1, v3, v15
	v_mov_b32_e32 v10, v2
	v_pk_mul_f32 v[2:3], v[8:9], 0.5 op_sel_hi:[1,0]
	v_mov_b32_e32 v249, v63
	v_pk_fma_f32 v[2:3], v[8:9], s[2:3], v[2:3] op_sel:[0,0,1] op_sel_hi:[1,1,0] neg_lo:[0,0,1] neg_hi:[0,0,1]
	s_mov_b32 s3, 0x8000
	v_pk_add_f32 v[8:9], v[10:11], v[2:3]
	ds_write_b64 v180, v[8:9] offset:12096
	ds_write_b64 v180, v[4:5] offset:16416
	;; [unrolled: 1-line block ×3, first 2 shown]
	v_pk_add_f32 v[0:1], v[10:11], v[2:3] neg_lo:[0,1] neg_hi:[0,1]
	ds_write_b64 v180, v[0:1] offset:25056
	s_waitcnt lgkmcnt(0)
	s_barrier
	global_load_dwordx2 v[6:7], v[198:199], off offset:1344
	v_lshl_add_u64 v[0:1], v[236:237], 0, s[10:11]
	global_load_dwordx2 v[8:9], v[0:1], off offset:864
	global_load_dwordx2 v[250:251], v[0:1], off offset:1728
	global_load_dwordx2 v[254:255], v[0:1], off offset:2592
	ds_read2_b64 v[2:5], v180 offset1:108
	v_add_co_u32_e32 v252, vcc, s3, v236
	s_mov_b32 s3, 0xa000
	s_nop 0
	v_addc_co_u32_e32 v253, vcc, 0, v237, vcc
	s_mov_b32 s10, 0xbe9e377a
	s_mov_b32 s11, s6
	v_mov_b32_e32 v246, v87
	v_mov_b32_e32 v248, v83
	s_waitcnt vmcnt(3) lgkmcnt(0)
	v_mul_f32_e32 v10, v3, v7
	v_mul_f32_e32 v11, v2, v7
	v_fma_f32 v10, v2, v6, -v10
	v_fmac_f32_e32 v11, v3, v6
	ds_write_b64 v180, v[10:11]
	global_load_dwordx2 v[6:7], v[252:253], off offset:1792
	global_load_dwordx2 v[184:185], v[252:253], off offset:928
	s_waitcnt vmcnt(4)
	v_mul_f32_e32 v2, v5, v9
	v_mul_f32_e32 v199, v4, v9
	v_fma_f32 v198, v4, v8, -v2
	v_fmac_f32_e32 v199, v5, v8
	ds_read2_b64 v[2:5], v75 offset0:56 offset1:164
	s_waitcnt vmcnt(1) lgkmcnt(0)
	v_mul_f32_e32 v8, v3, v7
	v_fma_f32 v8, v2, v6, -v8
	v_mul_f32_e32 v9, v2, v7
	v_add_co_u32_e32 v2, vcc, s3, v236
	v_fmac_f32_e32 v9, v3, v6
	s_nop 0
	v_addc_co_u32_e32 v3, vcc, 0, v237, vcc
	global_load_dwordx2 v[6:7], v[252:253], off offset:2656
	global_load_dwordx2 v[10:11], v[252:253], off offset:3520
	;; [unrolled: 1-line block ×4, first 2 shown]
	s_mov_b32 s3, 0x9000
	s_waitcnt vmcnt(3)
	v_mul_f32_e32 v16, v5, v7
	v_mul_f32_e32 v17, v4, v7
	v_fma_f32 v16, v4, v6, -v16
	v_fmac_f32_e32 v17, v5, v6
	v_add_co_u32_e32 v6, vcc, s3, v236
	s_mov_b32 s3, 0xb000
	s_nop 0
	v_addc_co_u32_e32 v7, vcc, 0, v237, vcc
	global_load_dwordx2 v[18:19], v[2:3], off offset:2240
	global_load_dwordx2 v[20:21], v[2:3], off offset:3104
	global_load_dwordx2 v[22:23], v[2:3], off offset:3968
	global_load_dwordx2 v[24:25], v[6:7], off offset:288
	ds_read2_b64 v[2:5], v91 offset0:112 offset1:220
	s_waitcnt vmcnt(3) lgkmcnt(0)
	v_mul_f32_e32 v26, v3, v19
	v_fma_f32 v26, v2, v18, -v26
	v_mul_f32_e32 v27, v2, v19
	s_waitcnt vmcnt(2)
	v_mul_f32_e32 v2, v5, v21
	v_mul_f32_e32 v19, v4, v21
	v_fmac_f32_e32 v27, v3, v18
	v_fma_f32 v18, v4, v20, -v2
	v_fmac_f32_e32 v19, v5, v20
	ds_read2_b64 v[2:5], v99 offset0:88 offset1:196
	s_waitcnt lgkmcnt(0)
	v_mul_f32_e32 v20, v3, v251
	v_fma_f32 v20, v2, v250, -v20
	v_mul_f32_e32 v21, v2, v251
	v_mul_f32_e32 v2, v5, v255
	;; [unrolled: 1-line block ×3, first 2 shown]
	v_fmac_f32_e32 v21, v3, v250
	v_fma_f32 v28, v4, v254, -v2
	v_fmac_f32_e32 v29, v5, v254
	ds_read2_b64 v[2:5], v31 offset0:16 offset1:124
	v_mov_b32_e32 v250, v36
	v_mov_b32_e32 v251, v91
	s_waitcnt lgkmcnt(0)
	v_mul_f32_e32 v30, v3, v11
	v_fma_f32 v30, v2, v10, -v30
	v_mul_f32_e32 v31, v2, v11
	s_waitcnt vmcnt(0)
	v_mul_f32_e32 v2, v5, v25
	v_mul_f32_e32 v11, v4, v25
	v_fmac_f32_e32 v31, v3, v10
	v_fma_f32 v10, v4, v24, -v2
	v_fmac_f32_e32 v11, v5, v24
	ds_read2_b64 v[2:5], v36 offset0:72 offset1:180
	s_waitcnt lgkmcnt(0)
	v_mul_f32_e32 v24, v3, v23
	v_fma_f32 v24, v2, v22, -v24
	v_mul_f32_e32 v25, v2, v23
	v_add_co_u32_e32 v2, vcc, s3, v236
	v_fmac_f32_e32 v25, v3, v22
	s_nop 0
	v_addc_co_u32_e32 v3, vcc, 0, v237, vcc
	global_load_dwordx2 v[22:23], v[2:3], off offset:736
	global_load_dwordx2 v[32:33], v[2:3], off offset:1600
	;; [unrolled: 1-line block ×4, first 2 shown]
	s_movk_i32 s3, 0x7000
	s_waitcnt vmcnt(3)
	v_mul_f32_e32 v2, v5, v23
	v_mul_f32_e32 v39, v4, v23
	v_fma_f32 v38, v4, v22, -v2
	v_fmac_f32_e32 v39, v5, v22
	global_load_dwordx2 v[4:5], v[0:1], off offset:3456
	global_load_dwordx2 v[22:23], v[252:253], off offset:64
	ds_read2_b64 v[0:3], v63 offset0:48 offset1:156
	s_waitcnt vmcnt(1) lgkmcnt(0)
	v_mul_f32_e32 v40, v1, v5
	v_fma_f32 v40, v0, v4, -v40
	v_mul_f32_e32 v41, v0, v5
	v_add_co_u32_e32 v0, vcc, s3, v236
	v_fmac_f32_e32 v41, v1, v4
	s_nop 0
	v_addc_co_u32_e32 v1, vcc, 0, v237, vcc
	s_mov_b32 s3, 0xc000
	v_add_co_u32_e32 v4, vcc, s3, v236
	s_nop 1
	v_addc_co_u32_e32 v5, vcc, 0, v237, vcc
	global_load_dwordx2 v[42:43], v[0:1], off offset:1568
	global_load_dwordx2 v[44:45], v[0:1], off offset:2432
	;; [unrolled: 1-line block ×4, first 2 shown]
	s_waitcnt vmcnt(3)
	v_mul_f32_e32 v0, v3, v43
	v_mul_f32_e32 v51, v2, v43
	v_fma_f32 v50, v2, v42, -v0
	v_fmac_f32_e32 v51, v3, v42
	global_load_dwordx2 v[42:43], v[6:7], off offset:1152
	global_load_dwordx2 v[168:169], v[6:7], off offset:2016
	;; [unrolled: 1-line block ×3, first 2 shown]
	s_nop 0
	global_load_dwordx2 v[6:7], v[6:7], off offset:3744
	ds_read2_b64 v[0:3], v83 offset0:104 offset1:212
	s_waitcnt vmcnt(3) lgkmcnt(0)
	v_mul_f32_e32 v55, v1, v43
	v_fma_f32 v172, v0, v42, -v55
	v_mul_f32_e32 v173, v0, v43
	s_waitcnt vmcnt(2)
	v_mul_f32_e32 v0, v3, v169
	v_mul_f32_e32 v43, v2, v169
	v_fmac_f32_e32 v173, v1, v42
	v_fma_f32 v42, v2, v168, -v0
	v_fmac_f32_e32 v43, v3, v168
	ds_read2_b64 v[0:3], v159 offset0:32 offset1:140
	s_waitcnt lgkmcnt(0)
	v_mul_f32_e32 v55, v1, v33
	v_fma_f32 v168, v0, v32, -v55
	v_mul_f32_e32 v169, v0, v33
	v_mul_f32_e32 v0, v3, v35
	;; [unrolled: 1-line block ×3, first 2 shown]
	v_fmac_f32_e32 v169, v1, v32
	v_fma_f32 v32, v2, v34, -v0
	v_fmac_f32_e32 v33, v3, v34
	ds_read2_b64 v[0:3], v147 offset0:136 offset1:244
	s_waitcnt lgkmcnt(0)
	v_mul_f32_e32 v34, v1, v45
	v_fma_f32 v34, v0, v44, -v34
	v_mul_f32_e32 v35, v0, v45
	v_mul_f32_e32 v0, v3, v47
	;; [unrolled: 1-line block ×3, first 2 shown]
	v_fmac_f32_e32 v35, v1, v44
	v_fma_f32 v44, v2, v46, -v0
	v_fmac_f32_e32 v45, v3, v46
	ds_read2_b64 v[0:3], v87 offset0:64 offset1:172
	s_waitcnt vmcnt(1) lgkmcnt(0)
	v_mul_f32_e32 v46, v1, v171
	v_fma_f32 v46, v0, v170, -v46
	v_mul_f32_e32 v47, v0, v171
	s_waitcnt vmcnt(0)
	v_mul_f32_e32 v0, v3, v7
	v_mul_f32_e32 v171, v2, v7
	v_fmac_f32_e32 v47, v1, v170
	v_fma_f32 v170, v2, v6, -v0
	v_fmac_f32_e32 v171, v3, v6
	ds_read2_b64 v[0:3], v163 offset0:120 offset1:228
	s_waitcnt lgkmcnt(0)
	v_mul_f32_e32 v6, v1, v37
	v_fma_f32 v6, v0, v36, -v6
	v_mul_f32_e32 v7, v0, v37
	v_mul_f32_e32 v0, v3, v49
	v_mul_f32_e32 v37, v2, v49
	v_fmac_f32_e32 v7, v1, v36
	v_fma_f32 v36, v2, v48, -v0
	v_fmac_f32_e32 v37, v3, v48
	ds_read2_b64 v[0:3], v139 offset0:96 offset1:204
	s_waitcnt lgkmcnt(0)
	v_mul_f32_e32 v48, v1, v23
	v_fma_f32 v48, v0, v22, -v48
	v_mul_f32_e32 v49, v0, v23
	;; [unrolled: 10-line block ×3, first 2 shown]
	v_mul_f32_e32 v0, v3, v15
	v_mul_f32_e32 v13, v2, v15
	v_fmac_f32_e32 v179, v1, v12
	v_fma_f32 v12, v2, v14, -v0
	v_fmac_f32_e32 v13, v3, v14
	global_load_dwordx2 v[14:15], v[4:5], off offset:960
	s_nop 0
	global_load_dwordx2 v[4:5], v[4:5], off offset:1824
	ds_read2_b64 v[0:3], v155 offset0:80 offset1:188
	s_waitcnt vmcnt(1) lgkmcnt(0)
	v_mul_f32_e32 v55, v1, v15
	v_fma_f32 v182, v0, v14, -v55
	v_mul_f32_e32 v183, v0, v15
	s_waitcnt vmcnt(0)
	v_mul_f32_e32 v0, v3, v5
	v_fmac_f32_e32 v183, v1, v14
	v_fma_f32 v0, v2, v4, -v0
	v_mul_f32_e32 v1, v2, v5
	v_accvgpr_read_b32 v2, a3
	ds_write2_b64 v2, v[16:17], v[30:31] offset0:36 offset1:144
	v_accvgpr_read_b32 v2, a64
	ds_write2_b64 v2, v[18:19], v[24:25] offset0:92 offset1:200
	v_add_u32_e32 v2, 0x800, v180
	ds_write2_b64 v2, v[28:29], v[40:41] offset0:68 offset1:176
	v_accvgpr_read_b32 v2, a65
	ds_write2_b64 v2, v[38:39], v[168:169] offset0:52 offset1:160
	v_accvgpr_read_b32 v2, a68
	ds_write2_b64 v2, v[42:43], v[46:47] offset0:84 offset1:192
	v_add_u32_e32 v2, 0x1400, v180
	ds_write2_b64 v2, v[44:45], v[48:49] offset0:116 offset1:224
	v_accvgpr_read_b32 v2, a71
	ds_write2_b64 v2, v[170:171], v[178:179] offset0:44 offset1:152
	v_accvgpr_read_b32 v2, a72
	v_fmac_f32_e32 v1, v3, v4
	ds_write2_b64 v2, v[36:37], v[182:183] offset0:100 offset1:208
	v_add_u32_e32 v2, 0x1c00, v180
	ds_write2_b64 v2, v[22:23], v[8:9] offset0:76 offset1:184
	ds_write2_b64 v180, v[198:199], v[20:21] offset0:108 offset1:216
	;; [unrolled: 1-line block ×6, first 2 shown]
	ds_write_b64 v180, v[0:1] offset:25056
	s_waitcnt lgkmcnt(0)
	s_barrier
	ds_read2_b64 v[0:3], v99 offset0:88 offset1:196
	ds_read2_b64 v[4:7], v59 offset0:16 offset1:124
	;; [unrolled: 1-line block ×3, first 2 shown]
	v_accvgpr_read_b32 v59, a1
	v_mov_b32_e32 v55, v75
	s_waitcnt lgkmcnt(1)
	v_pk_add_f32 v[12:13], v[0:1], v[4:5]
	s_waitcnt lgkmcnt(0)
	v_pk_add_f32 v[14:15], v[4:5], v[8:9]
	v_pk_add_f32 v[16:17], v[4:5], v[8:9] neg_lo:[0,1] neg_hi:[0,1]
	v_pk_add_f32 v[4:5], v[2:3], v[6:7]
	v_pk_add_f32 v[18:19], v[6:7], v[10:11]
	v_pk_add_f32 v[20:21], v[6:7], v[10:11] neg_lo:[0,1] neg_hi:[0,1]
	v_pk_add_f32 v[22:23], v[12:13], v[8:9]
	v_pk_add_f32 v[24:25], v[4:5], v[10:11]
	v_pk_fma_f32 v[26:27], v[14:15], 0.5, v[0:1] op_sel_hi:[1,0,1] neg_lo:[1,0,0] neg_hi:[1,0,0]
	v_pk_fma_f32 v[18:19], v[18:19], 0.5, v[2:3] op_sel_hi:[1,0,1] neg_lo:[1,0,0] neg_hi:[1,0,0]
	ds_read2_b64 v[0:3], v63 offset0:48 offset1:156
	ds_read2_b64 v[4:7], v83 offset0:104 offset1:212
	ds_read2_b64 v[8:11], v159 offset0:32 offset1:140
	s_waitcnt lgkmcnt(1)
	v_pk_add_f32 v[12:13], v[0:1], v[4:5]
	s_waitcnt lgkmcnt(0)
	v_pk_add_f32 v[14:15], v[4:5], v[8:9]
	v_pk_add_f32 v[28:29], v[4:5], v[8:9] neg_lo:[0,1] neg_hi:[0,1]
	v_pk_add_f32 v[4:5], v[2:3], v[6:7]
	v_pk_add_f32 v[30:31], v[6:7], v[10:11]
	v_pk_add_f32 v[32:33], v[6:7], v[10:11] neg_lo:[0,1] neg_hi:[0,1]
	v_pk_add_f32 v[34:35], v[12:13], v[8:9]
	v_pk_add_f32 v[36:37], v[4:5], v[10:11]
	v_pk_fma_f32 v[38:39], v[14:15], 0.5, v[0:1] op_sel_hi:[1,0,1] neg_lo:[1,0,0] neg_hi:[1,0,0]
	v_pk_fma_f32 v[30:31], v[30:31], 0.5, v[2:3] op_sel_hi:[1,0,1] neg_lo:[1,0,0] neg_hi:[1,0,0]
	ds_read2_b64 v[0:3], v147 offset0:136 offset1:244
	ds_read2_b64 v[4:7], v87 offset0:64 offset1:172
	ds_read2_b64 v[8:11], v163 offset0:120 offset1:228
	s_waitcnt lgkmcnt(1)
	v_pk_add_f32 v[12:13], v[0:1], v[4:5]
	s_waitcnt lgkmcnt(0)
	v_pk_add_f32 v[14:15], v[4:5], v[8:9]
	v_pk_add_f32 v[40:41], v[4:5], v[8:9] neg_lo:[0,1] neg_hi:[0,1]
	v_pk_add_f32 v[4:5], v[2:3], v[6:7]
	v_pk_add_f32 v[42:43], v[6:7], v[10:11]
	v_pk_add_f32 v[44:45], v[6:7], v[10:11] neg_lo:[0,1] neg_hi:[0,1]
	v_pk_add_f32 v[46:47], v[12:13], v[8:9]
	v_pk_add_f32 v[48:49], v[4:5], v[10:11]
	v_pk_fma_f32 v[50:51], v[14:15], 0.5, v[0:1] op_sel_hi:[1,0,1] neg_lo:[1,0,0] neg_hi:[1,0,0]
	v_pk_fma_f32 v[42:43], v[42:43], 0.5, v[2:3] op_sel_hi:[1,0,1] neg_lo:[1,0,0] neg_hi:[1,0,0]
	ds_read2_b64 v[0:3], v139 offset0:96 offset1:204
	ds_read2_b64 v[4:7], v189 offset0:24 offset1:132
	ds_read2_b64 v[8:11], v155 offset0:80 offset1:188
	s_waitcnt lgkmcnt(1)
	v_pk_add_f32 v[12:13], v[0:1], v[4:5]
	s_waitcnt lgkmcnt(0)
	v_pk_add_f32 v[168:169], v[4:5], v[8:9]
	v_pk_add_f32 v[170:171], v[4:5], v[8:9] neg_lo:[0,1] neg_hi:[0,1]
	v_pk_add_f32 v[4:5], v[2:3], v[6:7]
	v_pk_add_f32 v[172:173], v[6:7], v[10:11]
	v_pk_add_f32 v[178:179], v[6:7], v[10:11] neg_lo:[0,1] neg_hi:[0,1]
	v_pk_add_f32 v[182:183], v[12:13], v[8:9]
	v_pk_add_f32 v[184:185], v[4:5], v[10:11]
	ds_read2_b64 v[4:7], v180 offset1:108
	ds_read2_b64 v[8:11], v75 offset0:56 offset1:164
	ds_read2_b64 v[12:15], v91 offset0:112 offset1:220
	s_waitcnt lgkmcnt(0)
	s_barrier
	v_pk_add_f32 v[196:197], v[4:5], v[8:9]
	v_pk_add_f32 v[198:199], v[8:9], v[12:13]
	v_pk_add_f32 v[8:9], v[8:9], v[12:13] neg_lo:[0,1] neg_hi:[0,1]
	v_pk_add_f32 v[186:187], v[6:7], v[10:11]
	v_pk_fma_f32 v[4:5], v[198:199], 0.5, v[4:5] op_sel_hi:[1,0,1] neg_lo:[1,0,0] neg_hi:[1,0,0]
	v_pk_mul_f32 v[8:9], v[8:9], s[2:3] op_sel_hi:[1,0]
	v_pk_add_f32 v[194:195], v[10:11], v[14:15]
	v_pk_add_f32 v[10:11], v[10:11], v[14:15] neg_lo:[0,1] neg_hi:[0,1]
	v_pk_add_f32 v[14:15], v[186:187], v[14:15]
	v_pk_add_f32 v[186:187], v[4:5], v[8:9] op_sel:[0,1] op_sel_hi:[1,0] neg_lo:[0,1] neg_hi:[0,1]
	v_pk_add_f32 v[4:5], v[4:5], v[8:9] op_sel:[0,1] op_sel_hi:[1,0]
	v_pk_add_f32 v[12:13], v[196:197], v[12:13]
	v_mov_b32_e32 v9, v5
	v_mov_b32_e32 v5, v187
	v_pk_fma_f32 v[6:7], v[194:195], 0.5, v[6:7] op_sel_hi:[1,0,1] neg_lo:[1,0,0] neg_hi:[1,0,0]
	v_mov_b32_e32 v8, v186
	ds_write_b64 v59, v[4:5] offset:16
	v_pk_mul_f32 v[4:5], v[10:11], s[2:3] op_sel_hi:[1,0]
	ds_write2_b64 v59, v[12:13], v[8:9] offset1:1
	v_pk_add_f32 v[8:9], v[6:7], v[4:5] op_sel:[0,1] op_sel_hi:[1,0] neg_lo:[0,1] neg_hi:[0,1]
	v_pk_add_f32 v[4:5], v[6:7], v[4:5] op_sel:[0,1] op_sel_hi:[1,0]
	v_mov_b32_e32 v6, v8
	v_mov_b32_e32 v7, v5
	v_accvgpr_read_b32 v8, a66
	v_mov_b32_e32 v5, v9
	ds_write_b64 v8, v[4:5] offset:16
	v_pk_mul_f32 v[4:5], v[16:17], s[2:3] op_sel_hi:[1,0]
	ds_write2_b64 v8, v[14:15], v[6:7] offset1:1
	v_pk_add_f32 v[6:7], v[26:27], v[4:5] op_sel:[0,1] op_sel_hi:[1,0] neg_lo:[0,1] neg_hi:[0,1]
	v_pk_add_f32 v[4:5], v[26:27], v[4:5] op_sel:[0,1] op_sel_hi:[1,0]
	v_mov_b32_e32 v8, v6
	v_mov_b32_e32 v9, v5
	v_accvgpr_read_b32 v6, a69
	v_mov_b32_e32 v5, v7
	ds_write_b64 v6, v[4:5] offset:16
	v_pk_mul_f32 v[4:5], v[20:21], s[2:3] op_sel_hi:[1,0]
	ds_write2_b64 v6, v[22:23], v[8:9] offset1:1
	v_pk_add_f32 v[6:7], v[18:19], v[4:5] op_sel:[0,1] op_sel_hi:[1,0] neg_lo:[0,1] neg_hi:[0,1]
	v_pk_add_f32 v[4:5], v[18:19], v[4:5] op_sel:[0,1] op_sel_hi:[1,0]
	v_mov_b32_e32 v8, v6
	v_mov_b32_e32 v9, v5
	v_accvgpr_read_b32 v6, a67
	v_mov_b32_e32 v5, v7
	ds_write_b64 v6, v[4:5] offset:16
	v_pk_mul_f32 v[4:5], v[28:29], s[2:3] op_sel_hi:[1,0]
	ds_write2_b64 v6, v[24:25], v[8:9] offset1:1
	v_pk_add_f32 v[6:7], v[38:39], v[4:5] op_sel:[0,1] op_sel_hi:[1,0] neg_lo:[0,1] neg_hi:[0,1]
	v_pk_add_f32 v[4:5], v[38:39], v[4:5] op_sel:[0,1] op_sel_hi:[1,0]
	v_mov_b32_e32 v8, v6
	v_mov_b32_e32 v9, v5
	v_accvgpr_read_b32 v6, a70
	v_mov_b32_e32 v5, v7
	ds_write_b64 v6, v[4:5] offset:16
	v_pk_mul_f32 v[4:5], v[32:33], s[2:3] op_sel_hi:[1,0]
	ds_write2_b64 v6, v[34:35], v[8:9] offset1:1
	v_pk_add_f32 v[6:7], v[30:31], v[4:5] op_sel:[0,1] op_sel_hi:[1,0] neg_lo:[0,1] neg_hi:[0,1]
	v_pk_add_f32 v[4:5], v[30:31], v[4:5] op_sel:[0,1] op_sel_hi:[1,0]
	v_mov_b32_e32 v8, v6
	v_mov_b32_e32 v9, v5
	v_accvgpr_read_b32 v6, a76
	v_mov_b32_e32 v5, v7
	ds_write_b64 v6, v[4:5] offset:16
	v_pk_mul_f32 v[4:5], v[40:41], s[2:3] op_sel_hi:[1,0]
	ds_write2_b64 v6, v[36:37], v[8:9] offset1:1
	v_pk_add_f32 v[6:7], v[50:51], v[4:5] op_sel:[0,1] op_sel_hi:[1,0] neg_lo:[0,1] neg_hi:[0,1]
	v_pk_add_f32 v[4:5], v[50:51], v[4:5] op_sel:[0,1] op_sel_hi:[1,0]
	v_mov_b32_e32 v8, v6
	v_mov_b32_e32 v9, v5
	v_accvgpr_read_b32 v6, a75
	v_mov_b32_e32 v5, v7
	ds_write_b64 v6, v[4:5] offset:16
	v_pk_mul_f32 v[4:5], v[44:45], s[2:3] op_sel_hi:[1,0]
	ds_write2_b64 v6, v[46:47], v[8:9] offset1:1
	v_pk_add_f32 v[6:7], v[42:43], v[4:5] op_sel:[0,1] op_sel_hi:[1,0] neg_lo:[0,1] neg_hi:[0,1]
	v_pk_add_f32 v[4:5], v[42:43], v[4:5] op_sel:[0,1] op_sel_hi:[1,0]
	v_mov_b32_e32 v8, v6
	v_mov_b32_e32 v9, v5
	v_accvgpr_read_b32 v6, a74
	v_mov_b32_e32 v5, v7
	ds_write_b64 v6, v[4:5] offset:16
	v_pk_fma_f32 v[0:1], v[168:169], 0.5, v[0:1] op_sel_hi:[1,0,1] neg_lo:[1,0,0] neg_hi:[1,0,0]
	v_pk_mul_f32 v[4:5], v[170:171], s[2:3] op_sel_hi:[1,0]
	ds_write2_b64 v6, v[48:49], v[8:9] offset1:1
	v_pk_add_f32 v[6:7], v[0:1], v[4:5] op_sel:[0,1] op_sel_hi:[1,0] neg_lo:[0,1] neg_hi:[0,1]
	v_pk_add_f32 v[0:1], v[0:1], v[4:5] op_sel:[0,1] op_sel_hi:[1,0]
	v_mov_b32_e32 v4, v6
	v_mov_b32_e32 v5, v1
	v_accvgpr_read_b32 v6, a73
	v_mov_b32_e32 v1, v7
	v_pk_fma_f32 v[2:3], v[172:173], 0.5, v[2:3] op_sel_hi:[1,0,1] neg_lo:[1,0,0] neg_hi:[1,0,0]
	ds_write_b64 v6, v[0:1] offset:16
	v_pk_mul_f32 v[0:1], v[178:179], s[2:3] op_sel_hi:[1,0]
	ds_write2_b64 v6, v[182:183], v[4:5] offset1:1
	v_pk_add_f32 v[4:5], v[2:3], v[0:1] op_sel:[0,1] op_sel_hi:[1,0] neg_lo:[0,1] neg_hi:[0,1]
	v_pk_add_f32 v[0:1], v[2:3], v[0:1] op_sel:[0,1] op_sel_hi:[1,0]
	v_mov_b32_e32 v2, v4
	v_mov_b32_e32 v3, v1
	v_accvgpr_read_b32 v4, a77
	v_mov_b32_e32 v1, v5
	ds_write2_b64 v4, v[184:185], v[2:3] offset1:1
	ds_write_b64 v4, v[0:1] offset:16
	s_waitcnt lgkmcnt(0)
	s_barrier
	ds_read2_b64 v[2:5], v189 offset0:24 offset1:132
	ds_read2_b64 v[12:15], v155 offset0:80 offset1:188
	v_accvgpr_read_b32 v8, a120
	v_accvgpr_read_b32 v9, a121
	;; [unrolled: 1-line block ×3, first 2 shown]
	s_waitcnt lgkmcnt(1)
	v_pk_mul_f32 v[6:7], v[8:9], v[4:5] op_sel:[1,0]
	v_accvgpr_read_b32 v18, a108
	v_pk_fma_f32 v[0:1], v[8:9], v[4:5], v[6:7] op_sel:[0,0,1] op_sel_hi:[1,1,0]
	v_pk_fma_f32 v[184:185], v[8:9], v[4:5], v[6:7] op_sel:[0,0,1] op_sel_hi:[0,1,0] neg_lo:[0,0,1] neg_hi:[0,0,1]
	v_accvgpr_read_b32 v4, a124
	s_waitcnt lgkmcnt(0)
	v_pk_mul_f32 v[4:5], v[4:5], v[14:15] op_sel_hi:[0,1]
	v_pk_fma_f32 v[8:9], v[10:11], v[14:15], v[4:5] op_sel:[0,0,1] op_sel_hi:[1,1,0]
	v_pk_fma_f32 v[10:11], v[10:11], v[14:15], v[4:5] op_sel:[0,0,1] op_sel_hi:[0,1,0] neg_lo:[0,0,1] neg_hi:[0,0,1]
	v_accvgpr_read_b32 v14, a114
	v_accvgpr_read_b32 v15, a115
	v_pk_mul_f32 v[4:5], v[14:15], v[2:3] op_sel:[1,0]
	v_accvgpr_read_b32 v16, a116
	v_pk_fma_f32 v[198:199], v[14:15], v[2:3], v[4:5] op_sel:[0,0,1] op_sel_hi:[1,1,0]
	v_pk_fma_f32 v[4:5], v[14:15], v[2:3], v[4:5] op_sel:[0,0,1] op_sel_hi:[0,1,0] neg_lo:[0,0,1] neg_hi:[0,0,1]
	v_accvgpr_read_b32 v2, a118
	v_pk_mul_f32 v[6:7], v[2:3], v[12:13] op_sel_hi:[0,1]
	v_pk_fma_f32 v[2:3], v[16:17], v[12:13], v[6:7] op_sel:[0,0,1] op_sel_hi:[1,1,0]
	v_pk_fma_f32 v[6:7], v[16:17], v[12:13], v[6:7] op_sel:[0,0,1] op_sel_hi:[0,1,0] neg_lo:[0,0,1] neg_hi:[0,0,1]
	ds_read2_b64 v[12:15], v87 offset0:64 offset1:172
	v_accvgpr_read_b32 v19, a109
	v_accvgpr_read_b32 v4, a112
	;; [unrolled: 1-line block ×4, first 2 shown]
	s_waitcnt lgkmcnt(0)
	v_pk_mul_f32 v[16:17], v[18:19], v[14:15] op_sel:[1,0]
	v_mov_b32_e32 v199, v5
	v_pk_fma_f32 v[168:169], v[18:19], v[14:15], v[16:17] op_sel:[0,0,1] op_sel_hi:[1,1,0]
	v_pk_fma_f32 v[24:25], v[18:19], v[14:15], v[16:17] op_sel:[0,0,1] op_sel_hi:[0,1,0] neg_lo:[0,0,1] neg_hi:[0,0,1]
	ds_read2_b64 v[14:17], v163 offset0:120 offset1:228
	v_mov_b32_e32 v169, v25
	v_mov_b32_e32 v3, v7
	v_pk_add_f32 v[6:7], v[198:199], v[2:3] neg_lo:[0,1] neg_hi:[0,1]
	v_mov_b32_e32 v9, v11
	s_waitcnt lgkmcnt(0)
	v_pk_mul_f32 v[18:19], v[4:5], v[16:17] op_sel_hi:[0,1]
	v_pk_fma_f32 v[26:27], v[20:21], v[16:17], v[18:19] op_sel:[0,0,1] op_sel_hi:[1,1,0]
	v_pk_fma_f32 v[28:29], v[20:21], v[16:17], v[18:19] op_sel:[0,0,1] op_sel_hi:[0,1,0] neg_lo:[0,0,1] neg_hi:[0,0,1]
	v_accvgpr_read_b32 v18, a102
	v_accvgpr_read_b32 v19, a103
	v_pk_mul_f32 v[16:17], v[18:19], v[12:13] op_sel:[1,0]
	v_accvgpr_read_b32 v4, a106
	v_accvgpr_read_b32 v20, a104
	v_pk_fma_f32 v[30:31], v[18:19], v[12:13], v[16:17] op_sel:[0,0,1] op_sel_hi:[1,1,0]
	v_pk_fma_f32 v[32:33], v[18:19], v[12:13], v[16:17] op_sel:[0,0,1] op_sel_hi:[0,1,0] neg_lo:[0,0,1] neg_hi:[0,0,1]
	v_pk_mul_f32 v[12:13], v[4:5], v[14:15] op_sel_hi:[0,1]
	v_pk_fma_f32 v[34:35], v[20:21], v[14:15], v[12:13] op_sel:[0,0,1] op_sel_hi:[1,1,0]
	v_pk_fma_f32 v[36:37], v[20:21], v[14:15], v[12:13] op_sel:[0,0,1] op_sel_hi:[0,1,0] neg_lo:[0,0,1] neg_hi:[0,0,1]
	ds_read2_b64 v[12:15], v83 offset0:104 offset1:212
	v_accvgpr_read_b32 v18, a96
	v_accvgpr_read_b32 v19, a97
	;; [unrolled: 1-line block ×4, first 2 shown]
	s_waitcnt lgkmcnt(0)
	v_pk_mul_f32 v[16:17], v[18:19], v[14:15] op_sel:[1,0]
	v_mov_b32_e32 v31, v33
	v_pk_fma_f32 v[38:39], v[18:19], v[14:15], v[16:17] op_sel:[0,0,1] op_sel_hi:[1,1,0]
	v_pk_fma_f32 v[40:41], v[18:19], v[14:15], v[16:17] op_sel:[0,0,1] op_sel_hi:[0,1,0] neg_lo:[0,0,1] neg_hi:[0,0,1]
	ds_read2_b64 v[14:17], v159 offset0:32 offset1:140
	v_mov_b32_e32 v39, v41
	v_mov_b32_e32 v35, v37
	;; [unrolled: 1-line block ×3, first 2 shown]
	v_pk_mul_f32 v[6:7], v[6:7], s[2:3] op_sel_hi:[1,0]
	s_waitcnt lgkmcnt(0)
	v_pk_mul_f32 v[18:19], v[4:5], v[16:17] op_sel_hi:[0,1]
	v_pk_fma_f32 v[42:43], v[20:21], v[16:17], v[18:19] op_sel:[0,0,1] op_sel_hi:[1,1,0]
	v_pk_fma_f32 v[44:45], v[20:21], v[16:17], v[18:19] op_sel:[0,0,1] op_sel_hi:[0,1,0] neg_lo:[0,0,1] neg_hi:[0,0,1]
	v_accvgpr_read_b32 v18, a90
	v_accvgpr_read_b32 v19, a91
	v_pk_mul_f32 v[16:17], v[18:19], v[12:13] op_sel:[1,0]
	v_accvgpr_read_b32 v4, a94
	v_accvgpr_read_b32 v20, a92
	v_pk_fma_f32 v[46:47], v[18:19], v[12:13], v[16:17] op_sel:[0,0,1] op_sel_hi:[1,1,0]
	v_pk_fma_f32 v[48:49], v[18:19], v[12:13], v[16:17] op_sel:[0,0,1] op_sel_hi:[0,1,0] neg_lo:[0,0,1] neg_hi:[0,0,1]
	v_pk_mul_f32 v[12:13], v[4:5], v[14:15] op_sel_hi:[0,1]
	v_pk_fma_f32 v[50:51], v[20:21], v[14:15], v[12:13] op_sel:[0,0,1] op_sel_hi:[1,1,0]
	v_pk_fma_f32 v[170:171], v[20:21], v[14:15], v[12:13] op_sel:[0,0,1] op_sel_hi:[0,1,0] neg_lo:[0,0,1] neg_hi:[0,0,1]
	ds_read2_b64 v[12:15], v247 offset0:16 offset1:124
	v_accvgpr_read_b32 v18, a86
	v_accvgpr_read_b32 v19, a87
	;; [unrolled: 1-line block ×4, first 2 shown]
	s_waitcnt lgkmcnt(0)
	v_pk_mul_f32 v[16:17], v[18:19], v[14:15] op_sel:[1,0]
	v_mov_b32_e32 v47, v49
	v_pk_fma_f32 v[172:173], v[18:19], v[14:15], v[16:17] op_sel:[0,0,1] op_sel_hi:[1,1,0]
	v_pk_fma_f32 v[178:179], v[18:19], v[14:15], v[16:17] op_sel:[0,0,1] op_sel_hi:[0,1,0] neg_lo:[0,0,1] neg_hi:[0,0,1]
	ds_read2_b64 v[14:17], v250 offset0:72 offset1:180
	v_mov_b32_e32 v173, v179
	v_mov_b32_e32 v51, v171
	v_mov_b32_e32 v43, v45
	s_waitcnt lgkmcnt(0)
	v_pk_mul_f32 v[18:19], v[4:5], v[16:17] op_sel_hi:[0,1]
	v_pk_fma_f32 v[182:183], v[20:21], v[16:17], v[18:19] op_sel:[0,0,1] op_sel_hi:[1,1,0]
	v_pk_fma_f32 v[186:187], v[20:21], v[16:17], v[18:19] op_sel:[0,0,1] op_sel_hi:[0,1,0] neg_lo:[0,0,1] neg_hi:[0,0,1]
	v_pk_mul_f32 v[16:17], v[174:175], v[12:13] op_sel:[1,0]
	v_accvgpr_read_b32 v4, a126
	v_pk_fma_f32 v[194:195], v[174:175], v[12:13], v[16:17] op_sel:[0,0,1] op_sel_hi:[1,1,0]
	v_pk_fma_f32 v[174:175], v[174:175], v[12:13], v[16:17] op_sel:[0,0,1] op_sel_hi:[0,1,0] neg_lo:[0,0,1] neg_hi:[0,0,1]
	v_pk_mul_f32 v[12:13], v[4:5], v[14:15] op_sel_hi:[0,1]
	v_pk_fma_f32 v[196:197], v[176:177], v[14:15], v[12:13] op_sel:[0,0,1] op_sel_hi:[1,1,0]
	v_pk_fma_f32 v[200:201], v[176:177], v[14:15], v[12:13] op_sel:[0,0,1] op_sel_hi:[0,1,0] neg_lo:[0,0,1] neg_hi:[0,0,1]
	ds_read2_b64 v[12:15], v75 offset0:56 offset1:164
	v_accvgpr_read_b32 v4, a132
	v_mov_b32_e32 v195, v175
	v_mov_b32_e32 v197, v201
	;; [unrolled: 1-line block ×3, first 2 shown]
	s_waitcnt lgkmcnt(0)
	v_pk_mul_f32 v[16:17], v[60:61], v[14:15] op_sel:[1,0]
	v_mov_b32_e32 v176, v75
	v_pk_fma_f32 v[202:203], v[60:61], v[14:15], v[16:17] op_sel:[0,0,1] op_sel_hi:[1,1,0]
	v_pk_fma_f32 v[60:61], v[60:61], v[14:15], v[16:17] op_sel:[0,0,1] op_sel_hi:[0,1,0] neg_lo:[0,0,1] neg_hi:[0,0,1]
	ds_read2_b64 v[14:17], v91 offset0:112 offset1:220
	v_mov_b32_e32 v203, v61
	s_waitcnt lgkmcnt(0)
	v_pk_mul_f32 v[18:19], v[4:5], v[16:17] op_sel_hi:[0,1]
	v_pk_fma_f32 v[212:213], v[62:63], v[16:17], v[18:19] op_sel:[0,0,1] op_sel_hi:[1,1,0]
	v_pk_fma_f32 v[216:217], v[62:63], v[16:17], v[18:19] op_sel:[0,0,1] op_sel_hi:[0,1,0] neg_lo:[0,0,1] neg_hi:[0,0,1]
	v_pk_mul_f32 v[16:17], v[64:65], v[12:13] op_sel:[1,0]
	v_accvgpr_read_b32 v4, a130
	v_pk_fma_f32 v[18:19], v[64:65], v[12:13], v[16:17] op_sel:[0,0,1] op_sel_hi:[1,1,0]
	v_pk_fma_f32 v[12:13], v[64:65], v[12:13], v[16:17] op_sel:[0,0,1] op_sel_hi:[0,1,0] neg_lo:[0,0,1] neg_hi:[0,0,1]
	v_pk_mul_f32 v[16:17], v[4:5], v[14:15] op_sel_hi:[0,1]
	v_pk_fma_f32 v[20:21], v[66:67], v[14:15], v[16:17] op_sel:[0,0,1] op_sel_hi:[1,1,0]
	v_pk_fma_f32 v[14:15], v[66:67], v[14:15], v[16:17] op_sel:[0,0,1] op_sel_hi:[0,1,0] neg_lo:[0,0,1] neg_hi:[0,0,1]
	v_mov_b32_e32 v19, v13
	v_mov_b32_e32 v21, v15
	ds_read2_b64 v[12:15], v180 offset1:108
	v_mov_b32_e32 v213, v217
	v_pk_add_f32 v[60:61], v[202:203], v[212:213] neg_lo:[0,1] neg_hi:[0,1]
	v_pk_add_f32 v[4:5], v[198:199], v[2:3]
	v_pk_mul_f32 v[60:61], v[60:61], s[2:3] op_sel_hi:[1,0]
	s_waitcnt lgkmcnt(0)
	v_pk_add_f32 v[16:17], v[12:13], v[18:19]
	s_nop 0
	v_pk_add_f32 v[64:65], v[16:17], v[20:21]
	v_pk_add_f32 v[16:17], v[18:19], v[20:21]
	v_pk_add_f32 v[18:19], v[18:19], v[20:21] neg_lo:[0,1] neg_hi:[0,1]
	v_pk_fma_f32 v[12:13], v[16:17], 0.5, v[12:13] op_sel_hi:[1,0,1] neg_lo:[1,0,0] neg_hi:[1,0,0]
	v_pk_mul_f32 v[16:17], v[18:19], s[2:3] op_sel_hi:[1,0]
	s_nop 0
	v_pk_add_f32 v[220:221], v[12:13], v[16:17] op_sel:[0,1] op_sel_hi:[1,0] neg_lo:[0,1] neg_hi:[0,1]
	v_pk_add_f32 v[12:13], v[12:13], v[16:17] op_sel:[0,1] op_sel_hi:[1,0]
	ds_read2_b64 v[16:19], v139 offset0:96 offset1:204
	ds_read2_b64 v[20:23], v147 offset0:136 offset1:244
	;; [unrolled: 1-line block ×4, first 2 shown]
	v_mov_b32_e32 v225, v13
	v_mov_b32_e32 v13, v221
	s_waitcnt lgkmcnt(0)
	s_barrier
	ds_write_b64 v1, v[12:13] offset:48
	v_pk_add_f32 v[12:13], v[202:203], v[212:213]
	v_mov_b32_e32 v224, v220
	v_pk_fma_f32 v[12:13], v[12:13], 0.5, v[14:15] op_sel_hi:[1,0,1] neg_lo:[1,0,0] neg_hi:[1,0,0]
	ds_write2_b64 v1, v[64:65], v[224:225] offset1:3
	v_pk_add_f32 v[14:15], v[14:15], v[202:203]
	v_pk_add_f32 v[64:65], v[12:13], v[60:61] op_sel:[0,1] op_sel_hi:[1,0] neg_lo:[0,1] neg_hi:[0,1]
	v_pk_add_f32 v[12:13], v[12:13], v[60:61] op_sel:[0,1] op_sel_hi:[1,0]
	v_pk_add_f32 v[14:15], v[14:15], v[212:213]
	v_mov_b32_e32 v60, v64
	v_mov_b32_e32 v61, v13
	v_accvgpr_read_b32 v1, a85
	v_mov_b32_e32 v13, v65
	ds_write2_b64 v1, v[14:15], v[60:61] offset1:3
	ds_write_b64 v1, v[12:13] offset:48
	v_pk_add_f32 v[12:13], v[194:195], v[196:197]
	v_pk_add_f32 v[14:15], v[194:195], v[196:197] neg_lo:[0,1] neg_hi:[0,1]
	v_pk_fma_f32 v[12:13], v[12:13], 0.5, v[240:241] op_sel_hi:[1,0,1] neg_lo:[1,0,0] neg_hi:[1,0,0]
	v_pk_mul_f32 v[14:15], v[14:15], s[2:3] op_sel_hi:[1,0]
	v_accvgpr_read_b32 v1, a89
	v_pk_add_f32 v[60:61], v[12:13], v[14:15] op_sel:[0,1] op_sel_hi:[1,0]
	v_pk_add_f32 v[12:13], v[12:13], v[14:15] op_sel:[0,1] op_sel_hi:[1,0] neg_lo:[0,1] neg_hi:[0,1]
	v_mov_b32_e32 v65, v61
	v_mov_b32_e32 v61, v13
	v_pk_add_f32 v[14:15], v[240:241], v[194:195]
	v_mov_b32_e32 v64, v12
	ds_write_b64 v1, v[60:61] offset:48
	v_pk_add_f32 v[12:13], v[172:173], v[182:183]
	v_pk_add_f32 v[60:61], v[172:173], v[182:183] neg_lo:[0,1] neg_hi:[0,1]
	v_pk_add_f32 v[14:15], v[14:15], v[196:197]
	v_pk_fma_f32 v[12:13], v[12:13], 0.5, v[242:243] op_sel_hi:[1,0,1] neg_lo:[1,0,0] neg_hi:[1,0,0]
	v_pk_mul_f32 v[60:61], v[60:61], s[2:3] op_sel_hi:[1,0]
	ds_write2_b64 v1, v[14:15], v[64:65] offset1:3
	v_pk_add_f32 v[14:15], v[242:243], v[172:173]
	v_pk_add_f32 v[64:65], v[12:13], v[60:61] op_sel:[0,1] op_sel_hi:[1,0]
	v_pk_add_f32 v[12:13], v[12:13], v[60:61] op_sel:[0,1] op_sel_hi:[1,0] neg_lo:[0,1] neg_hi:[0,1]
	v_pk_add_f32 v[14:15], v[14:15], v[182:183]
	v_mov_b32_e32 v60, v12
	v_mov_b32_e32 v61, v65
	v_accvgpr_read_b32 v1, a93
	ds_write2_b64 v1, v[14:15], v[60:61] offset1:3
	v_mov_b32_e32 v65, v13
	v_pk_add_f32 v[12:13], v[46:47], v[50:51]
	v_pk_add_f32 v[14:15], v[46:47], v[50:51] neg_lo:[0,1] neg_hi:[0,1]
	v_pk_fma_f32 v[12:13], v[12:13], 0.5, v[236:237] op_sel_hi:[1,0,1] neg_lo:[1,0,0] neg_hi:[1,0,0]
	v_pk_mul_f32 v[14:15], v[14:15], s[2:3] op_sel_hi:[1,0]
	ds_write_b64 v1, v[64:65] offset:48
	v_pk_add_f32 v[48:49], v[12:13], v[14:15] op_sel:[0,1] op_sel_hi:[1,0]
	v_pk_add_f32 v[12:13], v[12:13], v[14:15] op_sel:[0,1] op_sel_hi:[1,0] neg_lo:[0,1] neg_hi:[0,1]
	v_pk_add_f32 v[14:15], v[236:237], v[46:47]
	v_mov_b32_e32 v46, v12
	v_pk_add_f32 v[14:15], v[14:15], v[50:51]
	v_mov_b32_e32 v47, v49
	v_accvgpr_read_b32 v1, a95
	ds_write2_b64 v1, v[14:15], v[46:47] offset1:3
	v_mov_b32_e32 v49, v13
	v_pk_add_f32 v[12:13], v[38:39], v[42:43]
	v_pk_add_f32 v[14:15], v[238:239], v[38:39]
	v_pk_add_f32 v[38:39], v[38:39], v[42:43] neg_lo:[0,1] neg_hi:[0,1]
	v_pk_fma_f32 v[12:13], v[12:13], 0.5, v[238:239] op_sel_hi:[1,0,1] neg_lo:[1,0,0] neg_hi:[1,0,0]
	v_pk_mul_f32 v[38:39], v[38:39], s[2:3] op_sel_hi:[1,0]
	ds_write_b64 v1, v[48:49] offset:48
	v_pk_add_f32 v[40:41], v[12:13], v[38:39] op_sel:[0,1] op_sel_hi:[1,0]
	v_pk_add_f32 v[12:13], v[12:13], v[38:39] op_sel:[0,1] op_sel_hi:[1,0] neg_lo:[0,1] neg_hi:[0,1]
	v_pk_add_f32 v[14:15], v[14:15], v[42:43]
	v_mov_b32_e32 v38, v12
	v_mov_b32_e32 v39, v41
	v_accvgpr_read_b32 v1, a99
	ds_write2_b64 v1, v[14:15], v[38:39] offset1:3
	v_mov_b32_e32 v41, v13
	v_pk_add_f32 v[12:13], v[30:31], v[34:35]
	v_pk_add_f32 v[14:15], v[30:31], v[34:35] neg_lo:[0,1] neg_hi:[0,1]
	v_pk_fma_f32 v[12:13], v[12:13], 0.5, v[20:21] op_sel_hi:[1,0,1] neg_lo:[1,0,0] neg_hi:[1,0,0]
	v_pk_mul_f32 v[14:15], v[14:15], s[2:3] op_sel_hi:[1,0]
	ds_write_b64 v1, v[40:41] offset:48
	v_pk_add_f32 v[32:33], v[12:13], v[14:15] op_sel:[0,1] op_sel_hi:[1,0]
	v_pk_add_f32 v[12:13], v[12:13], v[14:15] op_sel:[0,1] op_sel_hi:[1,0] neg_lo:[0,1] neg_hi:[0,1]
	v_pk_add_f32 v[14:15], v[20:21], v[30:31]
	v_mov_b32_e32 v20, v12
	v_pk_add_f32 v[14:15], v[14:15], v[34:35]
	v_mov_b32_e32 v21, v33
	v_accvgpr_read_b32 v1, a101
	ds_write2_b64 v1, v[14:15], v[20:21] offset1:3
	v_mov_b32_e32 v33, v13
	v_pk_add_f32 v[12:13], v[168:169], v[26:27]
	v_pk_add_f32 v[20:21], v[168:169], v[26:27] neg_lo:[0,1] neg_hi:[0,1]
	v_pk_fma_f32 v[12:13], v[12:13], 0.5, v[22:23] op_sel_hi:[1,0,1] neg_lo:[1,0,0] neg_hi:[1,0,0]
	v_pk_mul_f32 v[20:21], v[20:21], s[2:3] op_sel_hi:[1,0]
	v_pk_add_f32 v[14:15], v[22:23], v[168:169]
	v_pk_add_f32 v[22:23], v[12:13], v[20:21] op_sel:[0,1] op_sel_hi:[1,0]
	v_pk_add_f32 v[12:13], v[12:13], v[20:21] op_sel:[0,1] op_sel_hi:[1,0] neg_lo:[0,1] neg_hi:[0,1]
	v_pk_fma_f32 v[4:5], v[4:5], 0.5, v[16:17] op_sel_hi:[1,0,1] neg_lo:[1,0,0] neg_hi:[1,0,0]
	ds_write_b64 v1, v[32:33] offset:48
	v_pk_add_f32 v[14:15], v[14:15], v[26:27]
	v_mov_b32_e32 v20, v12
	v_mov_b32_e32 v21, v23
	v_accvgpr_read_b32 v1, a105
	v_mov_b32_e32 v23, v13
	v_pk_add_f32 v[12:13], v[4:5], v[6:7] op_sel:[0,1] op_sel_hi:[1,0]
	v_pk_add_f32 v[4:5], v[4:5], v[6:7] op_sel:[0,1] op_sel_hi:[1,0] neg_lo:[0,1] neg_hi:[0,1]
	v_pk_add_f32 v[6:7], v[16:17], v[198:199]
	ds_write2_b64 v1, v[14:15], v[20:21] offset1:3
	ds_write_b64 v1, v[22:23] offset:48
	v_pk_add_f32 v[2:3], v[6:7], v[2:3]
	v_mov_b32_e32 v6, v4
	v_mov_b32_e32 v7, v13
	v_accvgpr_read_b32 v1, a107
	v_mov_b32_e32 v13, v5
	ds_write2_b64 v1, v[2:3], v[6:7] offset1:3
	ds_write_b64 v1, v[12:13] offset:48
	v_mov_b32_e32 v1, v185
	v_pk_add_f32 v[2:3], v[0:1], v[8:9]
	v_pk_add_f32 v[4:5], v[18:19], v[0:1]
	v_pk_add_f32 v[0:1], v[0:1], v[8:9] neg_lo:[0,1] neg_hi:[0,1]
	v_pk_fma_f32 v[2:3], v[2:3], 0.5, v[18:19] op_sel_hi:[1,0,1] neg_lo:[1,0,0] neg_hi:[1,0,0]
	v_pk_mul_f32 v[0:1], v[0:1], s[2:3] op_sel_hi:[1,0]
	v_accvgpr_read_b32 v38, a82
	v_pk_add_f32 v[6:7], v[2:3], v[0:1] op_sel:[0,1] op_sel_hi:[1,0]
	v_pk_add_f32 v[0:1], v[2:3], v[0:1] op_sel:[0,1] op_sel_hi:[1,0] neg_lo:[0,1] neg_hi:[0,1]
	v_pk_add_f32 v[2:3], v[4:5], v[8:9]
	v_mov_b32_e32 v4, v0
	v_mov_b32_e32 v5, v7
	;; [unrolled: 1-line block ×3, first 2 shown]
	ds_write2_b64 v67, v[2:3], v[4:5] offset1:3
	ds_write_b64 v67, v[6:7] offset:48
	s_waitcnt lgkmcnt(0)
	s_barrier
	ds_read2_b64 v[0:3], v155 offset0:80 offset1:188
	v_accvgpr_read_b32 v8, a208
	v_accvgpr_read_b32 v9, a209
	;; [unrolled: 1-line block ×4, first 2 shown]
	s_waitcnt lgkmcnt(0)
	v_pk_mul_f32 v[4:5], v[8:9], v[2:3] op_sel:[1,0]
	v_accvgpr_read_b32 v48, a78
	v_pk_fma_f32 v[6:7], v[8:9], v[2:3], v[4:5] op_sel:[0,0,1] op_sel_hi:[1,1,0]
	v_pk_fma_f32 v[30:31], v[8:9], v[2:3], v[4:5] op_sel:[0,0,1] op_sel_hi:[0,1,0] neg_lo:[0,0,1] neg_hi:[0,0,1]
	v_accvgpr_read_b32 v4, a186
	v_accvgpr_read_b32 v5, a187
	v_pk_mul_f32 v[2:3], v[4:5], v[0:1] op_sel:[1,0]
	v_accvgpr_read_b32 v8, a178
	v_pk_fma_f32 v[10:11], v[4:5], v[0:1], v[2:3] op_sel:[0,0,1] op_sel_hi:[1,1,0]
	v_pk_fma_f32 v[60:61], v[4:5], v[0:1], v[2:3] op_sel:[0,0,1] op_sel_hi:[0,1,0] neg_lo:[0,0,1] neg_hi:[0,0,1]
	ds_read2_b64 v[0:3], v163 offset0:120 offset1:228
	v_accvgpr_read_b32 v9, a179
	v_accvgpr_read_b32 v50, a80
	;; [unrolled: 1-line block ×3, first 2 shown]
	s_waitcnt lgkmcnt(0)
	v_pk_mul_f32 v[4:5], v[8:9], v[2:3] op_sel:[1,0]
	s_nop 0
	v_pk_fma_f32 v[170:171], v[8:9], v[2:3], v[4:5] op_sel:[0,0,1] op_sel_hi:[1,1,0]
	v_pk_fma_f32 v[168:169], v[8:9], v[2:3], v[4:5] op_sel:[0,0,1] op_sel_hi:[0,1,0] neg_lo:[0,0,1] neg_hi:[0,0,1]
	v_accvgpr_read_b32 v2, a176
	v_pk_mul_f32 v[2:3], v[2:3], v[0:1] op_sel_hi:[0,1]
	v_pk_fma_f32 v[8:9], v[74:75], v[0:1], v[2:3] op_sel:[0,0,1] op_sel_hi:[1,1,0]
	v_pk_fma_f32 v[4:5], v[74:75], v[0:1], v[2:3] op_sel:[0,0,1] op_sel_hi:[0,1,0] neg_lo:[0,0,1] neg_hi:[0,0,1]
	ds_read2_b64 v[0:3], v250 offset0:72 offset1:180
	v_mov_b32_e32 v4, v107
	v_mov_b32_e32 v9, v5
	;; [unrolled: 1-line block ×3, first 2 shown]
	s_waitcnt lgkmcnt(0)
	v_pk_mul_f32 v[12:13], v[72:73], v[2:3] op_sel:[1,0]
	s_nop 0
	v_pk_fma_f32 v[28:29], v[72:73], v[2:3], v[12:13] op_sel:[0,0,1] op_sel_hi:[1,1,0]
	v_pk_fma_f32 v[174:175], v[72:73], v[2:3], v[12:13] op_sel:[0,0,1] op_sel_hi:[0,1,0] neg_lo:[0,0,1] neg_hi:[0,0,1]
	v_pk_mul_f32 v[2:3], v[104:105], v[0:1] op_sel:[1,0]
	v_mov_b32_e32 v29, v175
	v_pk_fma_f32 v[62:63], v[104:105], v[0:1], v[2:3] op_sel:[0,0,1] op_sel_hi:[1,1,0]
	v_pk_fma_f32 v[178:179], v[104:105], v[0:1], v[2:3] op_sel:[0,0,1] op_sel_hi:[0,1,0] neg_lo:[0,0,1] neg_hi:[0,0,1]
	ds_read2_b64 v[0:3], v159 offset0:32 offset1:140
	v_mov_b32_e32 v63, v179
	s_waitcnt lgkmcnt(0)
	v_pk_mul_f32 v[12:13], v[4:5], v[2:3] op_sel_hi:[0,1]
	v_pk_fma_f32 v[34:35], v[106:107], v[2:3], v[12:13] op_sel:[0,0,1] op_sel_hi:[1,1,0]
	v_pk_fma_f32 v[64:65], v[106:107], v[2:3], v[12:13] op_sel:[0,0,1] op_sel_hi:[0,1,0] neg_lo:[0,0,1] neg_hi:[0,0,1]
	v_mov_b32_e32 v2, v123
	v_pk_mul_f32 v[2:3], v[2:3], v[0:1] op_sel_hi:[0,1]
	v_pk_fma_f32 v[104:105], v[122:123], v[0:1], v[2:3] op_sel:[0,0,1] op_sel_hi:[1,1,0]
	v_pk_fma_f32 v[22:23], v[122:123], v[0:1], v[2:3] op_sel:[0,0,1] op_sel_hi:[0,1,0] neg_lo:[0,0,1] neg_hi:[0,0,1]
	ds_read2_b64 v[0:3], v91 offset0:112 offset1:220
	v_accvgpr_read_b32 v4, a162
	v_mov_b32_e32 v105, v23
	s_waitcnt lgkmcnt(0)
	v_pk_mul_f32 v[12:13], v[120:121], v[2:3] op_sel:[1,0]
	s_nop 0
	v_pk_fma_f32 v[44:45], v[120:121], v[2:3], v[12:13] op_sel:[0,0,1] op_sel_hi:[1,1,0]
	v_pk_fma_f32 v[106:107], v[120:121], v[2:3], v[12:13] op_sel:[0,0,1] op_sel_hi:[0,1,0] neg_lo:[0,0,1] neg_hi:[0,0,1]
	v_accvgpr_read_b32 v2, a170
	v_pk_mul_f32 v[2:3], v[2:3], v[0:1] op_sel_hi:[0,1]
	v_pk_fma_f32 v[16:17], v[192:193], v[0:1], v[2:3] op_sel:[0,0,1] op_sel_hi:[1,1,0]
	v_pk_fma_f32 v[20:21], v[192:193], v[0:1], v[2:3] op_sel:[0,0,1] op_sel_hi:[0,1,0] neg_lo:[0,0,1] neg_hi:[0,0,1]
	ds_read2_b64 v[0:3], v87 offset0:64 offset1:172
	v_mov_b32_e32 v17, v21
	v_mov_b32_e32 v45, v107
	s_waitcnt lgkmcnt(0)
	v_pk_mul_f32 v[12:13], v[190:191], v[2:3] op_sel:[1,0]
	s_nop 0
	v_pk_fma_f32 v[32:33], v[190:191], v[2:3], v[12:13] op_sel:[0,0,1] op_sel_hi:[1,1,0]
	v_pk_fma_f32 v[172:173], v[190:191], v[2:3], v[12:13] op_sel:[0,0,1] op_sel_hi:[0,1,0] neg_lo:[0,0,1] neg_hi:[0,0,1]
	v_pk_mul_f32 v[2:3], v[52:53], v[0:1] op_sel:[1,0]
	v_mov_b32_e32 v174, v173
	v_pk_fma_f32 v[66:67], v[52:53], v[0:1], v[2:3] op_sel:[0,0,1] op_sel_hi:[1,1,0]
	v_pk_fma_f32 v[122:123], v[52:53], v[0:1], v[2:3] op_sel:[0,0,1] op_sel_hi:[0,1,0] neg_lo:[0,0,1] neg_hi:[0,0,1]
	ds_read2_b64 v[0:3], v189 offset0:24 offset1:132
	v_mov_b32_e32 v33, v173
	v_mov_b32_e32 v178, v123
	;; [unrolled: 1-line block ×3, first 2 shown]
	s_waitcnt lgkmcnt(0)
	v_pk_mul_f32 v[12:13], v[4:5], v[2:3] op_sel_hi:[0,1]
	v_pk_fma_f32 v[36:37], v[54:55], v[2:3], v[12:13] op_sel:[0,0,1] op_sel_hi:[1,1,0]
	v_pk_fma_f32 v[52:53], v[54:55], v[2:3], v[12:13] op_sel:[0,0,1] op_sel_hi:[0,1,0] neg_lo:[0,0,1] neg_hi:[0,0,1]
	v_accvgpr_read_b32 v2, a164
	v_pk_mul_f32 v[2:3], v[2:3], v[0:1] op_sel_hi:[0,1]
	v_pk_fma_f32 v[120:121], v[114:115], v[0:1], v[2:3] op_sel:[0,0,1] op_sel_hi:[1,1,0]
	v_pk_fma_f32 v[46:47], v[114:115], v[0:1], v[2:3] op_sel:[0,0,1] op_sel_hi:[0,1,0] neg_lo:[0,0,1] neg_hi:[0,0,1]
	ds_read2_b64 v[0:3], v83 offset0:104 offset1:212
	v_accvgpr_read_b32 v4, a152
	v_mov_b32_e32 v121, v47
	s_waitcnt lgkmcnt(0)
	v_pk_mul_f32 v[12:13], v[112:113], v[2:3] op_sel:[1,0]
	s_nop 0
	v_pk_fma_f32 v[54:55], v[112:113], v[2:3], v[12:13] op_sel:[0,0,1] op_sel_hi:[1,1,0]
	v_pk_fma_f32 v[72:73], v[112:113], v[2:3], v[12:13] op_sel:[0,0,1] op_sel_hi:[0,1,0] neg_lo:[0,0,1] neg_hi:[0,0,1]
	v_accvgpr_read_b32 v2, a160
	v_pk_mul_f32 v[2:3], v[2:3], v[0:1] op_sel_hi:[0,1]
	v_pk_fma_f32 v[18:19], v[40:41], v[0:1], v[2:3] op_sel:[0,0,1] op_sel_hi:[1,1,0]
	v_pk_fma_f32 v[182:183], v[40:41], v[0:1], v[2:3] op_sel:[0,0,1] op_sel_hi:[0,1,0] neg_lo:[0,0,1] neg_hi:[0,0,1]
	ds_read2_b64 v[0:3], v75 offset0:56 offset1:164
	v_mov_b32_e32 v19, v183
	v_mov_b32_e32 v55, v73
	;; [unrolled: 1-line block ×3, first 2 shown]
	v_pk_add_f32 v[22:23], v[54:55], v[44:45]
	s_waitcnt lgkmcnt(0)
	v_pk_mul_f32 v[12:13], v[38:39], v[2:3] op_sel:[1,0]
	s_nop 0
	v_pk_fma_f32 v[24:25], v[38:39], v[2:3], v[12:13] op_sel:[0,0,1] op_sel_hi:[1,1,0]
	v_pk_fma_f32 v[184:185], v[38:39], v[2:3], v[12:13] op_sel:[0,0,1] op_sel_hi:[0,1,0] neg_lo:[0,0,1] neg_hi:[0,0,1]
	v_accvgpr_read_b32 v12, a142
	v_accvgpr_read_b32 v13, a143
	v_pk_mul_f32 v[2:3], v[12:13], v[0:1] op_sel:[1,0]
	v_accvgpr_read_b32 v14, a144
	v_pk_fma_f32 v[42:43], v[12:13], v[0:1], v[2:3] op_sel:[0,0,1] op_sel_hi:[1,1,0]
	v_pk_fma_f32 v[186:187], v[12:13], v[0:1], v[2:3] op_sel:[0,0,1] op_sel_hi:[0,1,0] neg_lo:[0,0,1] neg_hi:[0,0,1]
	ds_read2_b64 v[0:3], v247 offset0:16 offset1:124
	v_mov_b32_e32 v30, v185
	v_pk_add_f32 v[172:173], v[30:31], v[174:175] neg_lo:[0,1] neg_hi:[0,1]
	v_mov_b32_e32 v25, v185
	v_mov_b32_e32 v184, v66
	s_waitcnt lgkmcnt(0)
	v_pk_mul_f32 v[12:13], v[4:5], v[2:3] op_sel_hi:[0,1]
	v_pk_fma_f32 v[40:41], v[14:15], v[2:3], v[12:13] op_sel:[0,0,1] op_sel_hi:[1,1,0]
	v_pk_fma_f32 v[74:75], v[14:15], v[2:3], v[12:13] op_sel:[0,0,1] op_sel_hi:[0,1,0] neg_lo:[0,0,1] neg_hi:[0,0,1]
	v_accvgpr_read_b32 v2, a156
	v_pk_mul_f32 v[2:3], v[2:3], v[0:1] op_sel_hi:[0,1]
	v_pk_fma_f32 v[112:113], v[98:99], v[0:1], v[2:3] op_sel:[0,0,1] op_sel_hi:[1,1,0]
	v_pk_fma_f32 v[98:99], v[98:99], v[0:1], v[2:3] op_sel:[0,0,1] op_sel_hi:[0,1,0] neg_lo:[0,0,1] neg_hi:[0,0,1]
	ds_read2_b64 v[0:3], v139 offset0:96 offset1:204
	v_accvgpr_read_b32 v4, a146
	v_mov_b32_e32 v113, v99
	v_pk_add_f32 v[230:231], v[112:113], v[120:121] neg_lo:[0,1] neg_hi:[0,1]
	v_mov_b32_e32 v185, v62
	s_waitcnt lgkmcnt(0)
	v_pk_mul_f32 v[12:13], v[96:97], v[2:3] op_sel:[1,0]
	v_mov_b32_e32 v60, v187
	v_pk_fma_f32 v[190:191], v[96:97], v[2:3], v[12:13] op_sel:[0,0,1] op_sel_hi:[1,1,0]
	v_pk_fma_f32 v[194:195], v[96:97], v[2:3], v[12:13] op_sel:[0,0,1] op_sel_hi:[0,1,0] neg_lo:[0,0,1] neg_hi:[0,0,1]
	v_accvgpr_read_b32 v2, a150
	v_pk_mul_f32 v[2:3], v[2:3], v[0:1] op_sel_hi:[0,1]
	v_pk_fma_f32 v[26:27], v[50:51], v[0:1], v[2:3] op_sel:[0,0,1] op_sel_hi:[1,1,0]
	v_pk_fma_f32 v[196:197], v[50:51], v[0:1], v[2:3] op_sel:[0,0,1] op_sel_hi:[0,1,0] neg_lo:[0,0,1] neg_hi:[0,0,1]
	ds_read2_b64 v[0:3], v249 offset0:48 offset1:156
	v_accvgpr_read_b32 v96, a138
	v_accvgpr_read_b32 v97, a139
	;; [unrolled: 1-line block ×3, first 2 shown]
	v_mov_b32_e32 v27, v197
	s_waitcnt lgkmcnt(0)
	v_pk_mul_f32 v[12:13], v[48:49], v[2:3] op_sel:[1,0]
	v_mov_b32_e32 v191, v195
	v_pk_fma_f32 v[14:15], v[48:49], v[2:3], v[12:13] op_sel:[0,0,1] op_sel_hi:[0,1,0]
	v_pk_fma_f32 v[12:13], v[48:49], v[2:3], v[12:13] op_sel:[0,0,1] op_sel_hi:[0,1,0] neg_lo:[0,0,1] neg_hi:[0,0,1]
	v_pk_mul_f32 v[2:3], v[96:97], v[0:1] op_sel:[1,0]
	v_mov_b32_e32 v168, v195
	v_pk_fma_f32 v[50:51], v[96:97], v[0:1], v[2:3] op_sel:[0,0,1] op_sel_hi:[0,1,0]
	v_pk_fma_f32 v[38:39], v[96:97], v[0:1], v[2:3] op_sel:[0,0,1] op_sel_hi:[0,1,0] neg_lo:[0,0,1] neg_hi:[0,0,1]
	ds_read2_b64 v[0:3], v147 offset0:136 offset1:244
	v_pk_add_f32 v[196:197], v[54:55], v[44:45] neg_lo:[0,1] neg_hi:[0,1]
	v_mov_b32_e32 v43, v187
	v_mov_b32_e32 v51, v39
	s_waitcnt lgkmcnt(0)
	v_pk_mul_f32 v[96:97], v[4:5], v[2:3] op_sel_hi:[0,1]
	v_pk_fma_f32 v[48:49], v[98:99], v[2:3], v[96:97] op_sel:[0,0,1] op_sel_hi:[1,1,0]
	v_pk_fma_f32 v[96:97], v[98:99], v[2:3], v[96:97] op_sel:[0,0,1] op_sel_hi:[0,1,0] neg_lo:[0,0,1] neg_hi:[0,0,1]
	v_accvgpr_read_b32 v2, a148
	v_pk_mul_f32 v[2:3], v[2:3], v[0:1] op_sel_hi:[0,1]
	v_pk_fma_f32 v[198:199], v[90:91], v[0:1], v[2:3] op_sel:[0,0,1] op_sel_hi:[1,1,0]
	v_pk_fma_f32 v[90:91], v[90:91], v[0:1], v[2:3] op_sel:[0,0,1] op_sel_hi:[0,1,0] neg_lo:[0,0,1] neg_hi:[0,0,1]
	ds_read2_b64 v[0:3], v167 offset0:88 offset1:196
	v_pk_add_f32 v[4:5], v[8:9], v[16:17] neg_lo:[0,1] neg_hi:[0,1]
	v_mov_b32_e32 v199, v91
	v_mov_b32_e32 v90, v190
	;; [unrolled: 1-line block ×3, first 2 shown]
	s_waitcnt lgkmcnt(0)
	v_pk_mul_f32 v[200:201], v[88:89], v[2:3] op_sel:[1,0]
	v_mov_b32_e32 v98, v54
	v_pk_fma_f32 v[202:203], v[88:89], v[2:3], v[200:201] op_sel:[0,0,1] op_sel_hi:[0,1,0]
	v_pk_fma_f32 v[88:89], v[88:89], v[2:3], v[200:201] op_sel:[0,0,1] op_sel_hi:[0,1,0] neg_lo:[0,0,1] neg_hi:[0,0,1]
	v_pk_add_f32 v[2:3], v[26:27], v[18:19] neg_lo:[0,1] neg_hi:[0,1]
	v_mov_b32_e32 v99, v44
	v_pk_add_f32 v[20:21], v[2:3], v[4:5]
	v_pk_add_f32 v[2:3], v[90:91], v[98:99] neg_lo:[0,1] neg_hi:[0,1]
	v_mov_b32_e32 v203, v89
	v_mov_b32_e32 v4, v3
	v_pk_add_f32 v[182:183], v[2:3], v[4:5]
	v_pk_add_f32 v[2:3], v[202:203], v[190:191]
	v_pk_add_f32 v[216:217], v[198:199], v[104:105] neg_lo:[0,1] neg_hi:[0,1]
	v_pk_add_f32 v[2:3], v[2:3], v[54:55]
	v_pk_mul_f32 v[46:47], v[216:217], s[6:7] op_sel_hi:[1,0]
	v_pk_add_f32 v[200:201], v[2:3], v[44:45]
	v_pk_add_f32 v[2:3], v[168:169], v[106:107] neg_lo:[0,1] neg_hi:[0,1]
	v_pk_add_f32 v[44:45], v[112:113], v[120:121]
	v_mov_b32_e32 v4, v3
	v_pk_add_f32 v[194:195], v[2:3], v[4:5]
	v_pk_add_f32 v[2:3], v[198:199], v[112:113] neg_lo:[0,1] neg_hi:[0,1]
	v_pk_add_f32 v[4:5], v[104:105], v[120:121] neg_lo:[0,1] neg_hi:[0,1]
	v_fma_f32 v15, -0.5, v22, v202
	v_pk_add_f32 v[212:213], v[2:3], v[4:5]
	ds_read2_b64 v[2:5], v180 offset1:108
	v_fma_f32 v35, -0.5, v23, v89
	v_mov_b32_e32 v195, v196
	v_mov_b32_e32 v183, v197
	v_pk_add_f32 v[200:201], v[200:201], v[170:171]
	s_waitcnt lgkmcnt(0)
	v_pk_fma_f32 v[44:45], v[44:45], 0.5, v[2:3] op_sel_hi:[1,0,1] neg_lo:[1,0,0] neg_hi:[1,0,0]
	s_nop 0
	v_pk_add_f32 v[220:221], v[44:45], v[46:47] op_sel:[0,1] op_sel_hi:[1,0] neg_lo:[0,1] neg_hi:[0,1]
	v_pk_add_f32 v[224:225], v[44:45], v[46:47] op_sel:[0,1] op_sel_hi:[1,0]
	v_pk_add_f32 v[44:45], v[18:19], v[16:17]
	s_barrier
	v_pk_fma_f32 v[46:47], v[44:45], 0.5, v[0:1] op_sel_hi:[1,0,1] neg_lo:[1,0,0] neg_hi:[1,0,0]
	v_pk_add_f32 v[44:45], v[26:27], v[8:9] neg_lo:[0,1] neg_hi:[0,1]
	s_nop 0
	v_pk_fma_f32 v[72:73], v[44:45], s[6:7], v[46:47] op_sel:[1,0,0] op_sel_hi:[0,0,1]
	v_pk_fma_f32 v[54:55], v[44:45], s[6:7], v[46:47] op_sel:[1,0,0] op_sel_hi:[0,0,1] neg_lo:[1,0,0] neg_hi:[1,0,0]
	v_pk_add_f32 v[46:47], v[18:19], v[16:17] neg_lo:[0,1] neg_hi:[0,1]
	v_mov_b32_e32 v37, v202
	v_pk_fma_f32 v[54:55], v[46:47], s[8:9], v[54:55] op_sel:[1,0,0] op_sel_hi:[0,0,1] neg_lo:[1,0,0] neg_hi:[1,0,0]
	v_pk_fma_f32 v[72:73], v[46:47], s[8:9], v[72:73] op_sel:[1,0,0] op_sel_hi:[0,0,1]
	s_mov_b32 s9, s14
	v_pk_mul_f32 v[232:233], v[230:231], s[8:9] op_sel_hi:[1,0]
	v_mov_b32_e32 v22, v72
	v_mov_b32_e32 v23, v55
	v_pk_add_f32 v[224:225], v[224:225], v[232:233] op_sel:[0,1] op_sel_hi:[1,0]
	v_pk_add_f32 v[220:221], v[220:221], v[232:233] op_sel:[0,1] op_sel_hi:[1,0] neg_lo:[0,1] neg_hi:[0,1]
	v_pk_fma_f32 v[22:23], v[20:21], s[12:13], v[22:23] op_sel_hi:[1,0,1]
	s_mov_b32 s13, s8
	v_pk_add_f32 v[232:233], v[190:191], v[170:171] neg_lo:[0,1] neg_hi:[0,1]
	v_pk_mul_f32 v[194:195], v[194:195], s[12:13]
	v_fmamk_f32 v11, v232, 0x3f737871, v35
	v_pk_mul_f32 v[182:183], v[182:183], s[12:13]
	v_fmamk_f32 v7, v233, 0xbf737871, v15
	v_add_f32_e32 v11, v195, v11
	v_sub_f32_e32 v7, v7, v183
	v_add_f32_e32 v12, v194, v11
	v_pk_mul_f32 v[234:235], v[12:13], s[8:9] op_sel_hi:[0,1]
	v_add_f32_e32 v12, v182, v7
	v_pk_fma_f32 v[236:237], v[12:13], s[14:15], v[234:235] neg_lo:[0,0,1] neg_hi:[0,0,1]
	v_pk_fma_f32 v[234:235], v[12:13], s[14:15], v[234:235] op_sel_hi:[0,1,1]
	v_mov_b32_e32 v237, v235
	v_pk_add_f32 v[234:235], v[2:3], v[198:199]
	v_mov_b32_e32 v238, v220
	v_pk_add_f32 v[234:235], v[234:235], v[112:113]
	;; [unrolled: 2-line block ×3, first 2 shown]
	v_pk_fma_f32 v[238:239], v[212:213], s[12:13], v[238:239] op_sel_hi:[1,0,1]
	v_pk_add_f32 v[234:235], v[234:235], v[104:105]
	v_pk_add_f32 v[242:243], v[238:239], v[236:237]
	;; [unrolled: 1-line block ×3, first 2 shown]
	ds_write2_b64 v115, v[240:241], v[242:243] offset1:9
	v_mov_b32_e32 v240, v24
	v_mov_b32_e32 v241, v6
	;; [unrolled: 1-line block ×4, first 2 shown]
	v_pk_add_f32 v[244:245], v[240:241], v[242:243] neg_lo:[0,1] neg_hi:[0,1]
	v_pk_add_f32 v[240:241], v[242:243], v[240:241] neg_lo:[0,1] neg_hi:[0,1]
	v_mov_b32_e32 v12, v245
	v_pk_add_f32 v[244:245], v[244:245], v[12:13]
	v_mov_b32_e32 v12, v241
	v_pk_add_f32 v[240:241], v[240:241], v[12:13]
	v_mov_b32_e32 v12, v173
	v_mov_b32_e32 v7, v31
	v_pk_add_f32 v[30:31], v[174:175], v[30:31] neg_lo:[0,1] neg_hi:[0,1]
	v_pk_add_f32 v[172:173], v[172:173], v[12:13]
	v_mov_b32_e32 v12, v31
	v_pk_add_f32 v[174:175], v[30:31], v[12:13]
	v_mov_b32_e32 v30, v42
	v_mov_b32_e32 v31, v10
	v_pk_add_f32 v[242:243], v[30:31], v[184:185] neg_lo:[0,1] neg_hi:[0,1]
	v_pk_add_f32 v[30:31], v[184:185], v[30:31] neg_lo:[0,1] neg_hi:[0,1]
	v_mov_b32_e32 v12, v243
	v_pk_add_f32 v[242:243], v[242:243], v[12:13]
	v_mov_b32_e32 v12, v31
	v_pk_add_f32 v[184:185], v[30:31], v[12:13]
	v_pk_add_f32 v[30:31], v[60:61], v[178:179] neg_lo:[0,1] neg_hi:[0,1]
	v_mov_b32_e32 v11, v61
	v_mov_b32_e32 v12, v31
	v_pk_add_f32 v[122:123], v[30:31], v[12:13]
	v_pk_add_f32 v[30:31], v[178:179], v[60:61] neg_lo:[0,1] neg_hi:[0,1]
	v_pk_add_f32 v[60:61], v[98:99], v[90:91] neg_lo:[0,1] neg_hi:[0,1]
	v_mov_b32_e32 v12, v31
	v_pk_add_f32 v[178:179], v[30:31], v[12:13]
	v_pk_add_f32 v[30:31], v[190:191], v[170:171]
	v_mov_b32_e32 v12, v61
	v_fmac_f32_e32 v37, -0.5, v30
	v_fmac_f32_e32 v89, -0.5, v31
	v_pk_add_f32 v[30:31], v[106:107], v[168:169] neg_lo:[0,1] neg_hi:[0,1]
	v_pk_add_f32 v[170:171], v[60:61], v[12:13]
	v_mov_b32_e32 v12, v31
	v_pk_add_f32 v[106:107], v[30:31], v[12:13]
	v_pk_add_f32 v[90:91], v[32:33], v[28:29] neg_lo:[0,1] neg_hi:[0,1]
	v_mov_b32_e32 v171, v233
	v_mov_b32_e32 v107, v232
	v_fmamk_f32 v12, v197, 0x3f737871, v37
	v_fmamk_f32 v38, v196, 0xbf737871, v89
	v_mov_b32_e32 v173, v90
	v_pk_mul_f32 v[170:171], v[170:171], s[12:13]
	v_pk_mul_f32 v[106:107], v[106:107], s[12:13]
	v_pk_add_f32 v[60:61], v[120:121], v[104:105] neg_lo:[0,1] neg_hi:[0,1]
	v_pk_add_f32 v[120:121], v[24:25], v[6:7] neg_lo:[0,1] neg_hi:[0,1]
	v_pk_mul_f32 v[168:169], v[172:173], s[12:13]
	v_pk_add_f32 v[172:173], v[66:67], v[62:63] neg_lo:[0,1] neg_hi:[0,1]
	v_pk_add_f32 v[186:187], v[42:43], v[10:11] neg_lo:[0,1] neg_hi:[0,1]
	v_sub_f32_e32 v41, v12, v171
	v_add_f32_e32 v12, v107, v38
	v_pk_add_f32 v[30:31], v[112:113], v[198:199] neg_lo:[0,1] neg_hi:[0,1]
	v_mov_b32_e32 v245, v91
	v_mov_b32_e32 v241, v121
	;; [unrolled: 1-line block ×7, first 2 shown]
	s_mov_b32 s7, s12
	v_add_f32_e32 v12, v106, v12
	v_pk_add_f32 v[112:113], v[198:199], v[104:105]
	v_pk_add_f32 v[104:105], v[30:31], v[60:61]
	v_pk_mul_f32 v[98:99], v[244:245], s[12:13]
	v_pk_mul_f32 v[30:31], v[240:241], s[12:13]
	;; [unrolled: 1-line block ×7, first 2 shown]
	s_mov_b32 s13, s6
	v_pk_mul_f32 v[190:191], v[12:13], s[6:7] op_sel_hi:[0,1]
	v_add_f32_e32 v12, v170, v41
	v_fmac_f32_e32 v37, 0xbf737871, v197
	v_fmac_f32_e32 v89, 0x3f737871, v196
	v_pk_fma_f32 v[196:197], v[12:13], s[12:13], v[190:191] neg_lo:[0,0,1] neg_hi:[0,0,1]
	v_pk_fma_f32 v[190:191], v[12:13], s[12:13], v[190:191] op_sel_hi:[0,1,1]
	v_pk_fma_f32 v[2:3], v[112:113], 0.5, v[2:3] op_sel_hi:[1,0,1] neg_lo:[1,0,0] neg_hi:[1,0,0]
	v_pk_mul_f32 v[112:113], v[230:231], s[6:7] op_sel_hi:[1,0]
	v_mov_b32_e32 v197, v191
	v_pk_add_f32 v[190:191], v[2:3], v[112:113] op_sel:[0,1] op_sel_hi:[1,0]
	v_pk_add_f32 v[2:3], v[2:3], v[112:113] op_sel:[0,1] op_sel_hi:[1,0] neg_lo:[0,1] neg_hi:[0,1]
	v_pk_mul_f32 v[112:113], v[216:217], s[8:9] op_sel_hi:[1,0]
	v_add_f32_e32 v12, v171, v37
	v_sub_f32_e32 v37, v89, v107
	v_pk_add_f32 v[2:3], v[2:3], v[112:113] op_sel:[0,1] op_sel_hi:[1,0]
	v_pk_add_f32 v[112:113], v[190:191], v[112:113] op_sel:[0,1] op_sel_hi:[1,0] neg_lo:[0,1] neg_hi:[0,1]
	v_add_f32_e32 v38, v106, v37
	v_add_f32_e32 v12, v170, v12
	v_pk_mul_f32 v[88:89], v[38:39], s[6:7] op_sel_hi:[0,1]
	v_mov_b32_e32 v106, v112
	v_mov_b32_e32 v107, v3
	;; [unrolled: 1-line block ×3, first 2 shown]
	v_fmac_f32_e32 v15, 0x3f737871, v233
	v_fmac_f32_e32 v35, 0xbf737871, v232
	v_pk_fma_f32 v[88:89], v[12:13], s[10:11], v[88:89] op_sel_hi:[0,1,1] neg_lo:[0,0,1] neg_hi:[0,0,1]
	v_pk_fma_f32 v[106:107], v[104:105], s[12:13], v[106:107] op_sel_hi:[1,0,1]
	v_pk_fma_f32 v[2:3], v[104:105], s[12:13], v[2:3] op_sel_hi:[1,0,1]
	v_add_f32_e32 v12, v183, v15
	v_sub_f32_e32 v15, v35, v195
	v_pk_add_f32 v[104:105], v[106:107], v[196:197]
	v_pk_add_f32 v[112:113], v[2:3], v[88:89]
	v_add_f32_e32 v38, v194, v15
	ds_write2_b64 v115, v[104:105], v[112:113] offset0:18 offset1:27
	v_add_f32_e32 v12, v182, v12
	v_pk_mul_f32 v[104:105], v[38:39], s[8:9] op_sel_hi:[0,1]
	v_mov_b32_e32 v225, v221
	v_pk_fma_f32 v[104:105], v[12:13], s[16:17], v[104:105] op_sel_hi:[0,1,1] neg_lo:[0,0,1] neg_hi:[0,0,1]
	v_pk_fma_f32 v[112:113], v[212:213], s[12:13], v[224:225] op_sel_hi:[1,0,1]
	v_pk_add_f32 v[2:3], v[2:3], v[88:89] neg_lo:[0,1] neg_hi:[0,1]
	v_pk_add_f32 v[88:89], v[112:113], v[104:105] neg_lo:[0,1] neg_hi:[0,1]
	ds_write2_b64 v115, v[2:3], v[88:89] offset0:72 offset1:81
	v_mov_b32_e32 v37, v53
	v_pk_add_f32 v[2:3], v[50:51], v[42:43]
	v_pk_add_f32 v[52:53], v[66:67], v[62:63]
	v_mov_b32_e32 v49, v97
	v_mov_b32_e32 v41, v75
	;; [unrolled: 1-line block ×3, first 2 shown]
	v_pk_add_f32 v[2:3], v[2:3], v[66:67]
	v_fma_f32 v15, -0.5, v52, v50
	v_pk_add_f32 v[2:3], v[2:3], v[62:63]
	v_pk_add_f32 v[62:63], v[48:49], v[40:41] neg_lo:[0,1] neg_hi:[0,1]
	v_pk_add_f32 v[64:65], v[34:35], v[36:37] neg_lo:[0,1] neg_hi:[0,1]
	v_fma_f32 v51, -0.5, v53, v39
	v_fmamk_f32 v12, v187, 0xbf737871, v15
	v_pk_add_f32 v[62:63], v[62:63], v[64:65]
	v_pk_add_f32 v[64:65], v[40:41], v[36:37]
	v_pk_add_f32 v[66:67], v[48:49], v[34:35] neg_lo:[0,1] neg_hi:[0,1]
	v_sub_f32_e32 v38, v12, v175
	v_fmamk_f32 v12, v186, 0x3f737871, v51
	v_pk_fma_f32 v[64:65], v[64:65], 0.5, v[4:5] op_sel_hi:[1,0,1] neg_lo:[1,0,0] neg_hi:[1,0,0]
	v_pk_mul_f32 v[74:75], v[66:67], s[6:7] op_sel_hi:[1,0]
	v_add_f32_e32 v12, v123, v12
	v_pk_add_f32 v[88:89], v[64:65], v[74:75] op_sel:[0,1] op_sel_hi:[1,0] neg_lo:[0,1] neg_hi:[0,1]
	v_pk_add_f32 v[64:65], v[64:65], v[74:75] op_sel:[0,1] op_sel_hi:[1,0]
	v_pk_add_f32 v[74:75], v[40:41], v[36:37] neg_lo:[0,1] neg_hi:[0,1]
	v_add_f32_e32 v12, v122, v12
	v_pk_mul_f32 v[96:97], v[74:75], s[8:9] op_sel_hi:[1,0]
	v_pk_mul_f32 v[52:53], v[12:13], s[8:9] op_sel_hi:[0,1]
	v_add_f32_e32 v12, v174, v38
	v_pk_add_f32 v[64:65], v[64:65], v[96:97] op_sel:[0,1] op_sel_hi:[1,0]
	v_pk_add_f32 v[88:89], v[88:89], v[96:97] op_sel:[0,1] op_sel_hi:[1,0] neg_lo:[0,1] neg_hi:[0,1]
	v_pk_fma_f32 v[96:97], v[12:13], s[14:15], v[52:53] neg_lo:[0,0,1] neg_hi:[0,0,1]
	v_pk_fma_f32 v[52:53], v[12:13], s[14:15], v[52:53] op_sel_hi:[0,1,1]
	v_mov_b32_e32 v97, v53
	v_pk_add_f32 v[52:53], v[4:5], v[48:49]
	v_pk_add_f32 v[170:171], v[234:235], v[200:201] neg_lo:[0,1] neg_hi:[0,1]
	v_pk_add_f32 v[52:53], v[52:53], v[40:41]
	v_pk_add_f32 v[182:183], v[112:113], v[104:105]
	;; [unrolled: 1-line block ×4, first 2 shown]
	v_mov_b32_e32 v104, v88
	v_mov_b32_e32 v105, v65
	v_pk_add_f32 v[10:11], v[42:43], v[10:11]
	v_mov_b32_e32 v38, v50
	ds_write2_b64 v115, v[182:183], v[170:171] offset0:36 offset1:45
	v_pk_add_f32 v[170:171], v[238:239], v[236:237] neg_lo:[0,1] neg_hi:[0,1]
	v_pk_add_f32 v[106:107], v[106:107], v[196:197] neg_lo:[0,1] neg_hi:[0,1]
	v_pk_add_f32 v[52:53], v[52:53], v[34:35]
	v_pk_fma_f32 v[104:105], v[62:63], s[12:13], v[104:105] op_sel_hi:[1,0,1]
	v_fmac_f32_e32 v38, -0.5, v10
	v_fmac_f32_e32 v39, -0.5, v11
	ds_write2_b64 v115, v[170:171], v[106:107] offset0:54 offset1:63
	v_pk_add_f32 v[106:107], v[52:53], v[2:3]
	v_pk_add_f32 v[112:113], v[104:105], v[96:97]
	v_fmamk_f32 v12, v173, 0x3f737871, v38
	v_fmamk_f32 v42, v172, 0xbf737871, v39
	ds_write2_b64 v193, v[106:107], v[112:113] offset1:9
	v_pk_add_f32 v[106:107], v[48:49], v[34:35]
	v_pk_add_f32 v[34:35], v[36:37], v[34:35] neg_lo:[0,1] neg_hi:[0,1]
	v_sub_f32_e32 v36, v12, v185
	v_add_f32_e32 v12, v179, v42
	v_pk_add_f32 v[10:11], v[40:41], v[48:49] neg_lo:[0,1] neg_hi:[0,1]
	v_add_f32_e32 v12, v178, v12
	v_pk_add_f32 v[10:11], v[10:11], v[34:35]
	v_pk_mul_f32 v[34:35], v[12:13], s[6:7] op_sel_hi:[0,1]
	v_add_f32_e32 v12, v184, v36
	v_pk_fma_f32 v[36:37], v[12:13], s[12:13], v[34:35] neg_lo:[0,0,1] neg_hi:[0,0,1]
	v_pk_fma_f32 v[34:35], v[12:13], s[12:13], v[34:35] op_sel_hi:[0,1,1]
	v_pk_fma_f32 v[4:5], v[106:107], 0.5, v[4:5] op_sel_hi:[1,0,1] neg_lo:[1,0,0] neg_hi:[1,0,0]
	v_fmac_f32_e32 v38, 0xbf737871, v173
	v_fmac_f32_e32 v39, 0x3f737871, v172
	v_mov_b32_e32 v37, v35
	v_pk_mul_f32 v[34:35], v[74:75], s[6:7] op_sel_hi:[1,0]
	v_add_f32_e32 v12, v185, v38
	v_pk_add_f32 v[40:41], v[4:5], v[34:35] op_sel:[0,1] op_sel_hi:[1,0]
	v_pk_add_f32 v[4:5], v[4:5], v[34:35] op_sel:[0,1] op_sel_hi:[1,0] neg_lo:[0,1] neg_hi:[0,1]
	v_pk_mul_f32 v[34:35], v[66:67], s[8:9] op_sel_hi:[1,0]
	v_sub_f32_e32 v38, v39, v179
	v_pk_add_f32 v[4:5], v[4:5], v[34:35] op_sel:[0,1] op_sel_hi:[1,0]
	v_pk_add_f32 v[34:35], v[40:41], v[34:35] op_sel:[0,1] op_sel_hi:[1,0] neg_lo:[0,1] neg_hi:[0,1]
	v_add_f32_e32 v38, v178, v38
	v_add_f32_e32 v12, v184, v12
	v_pk_mul_f32 v[38:39], v[38:39], s[6:7] op_sel_hi:[0,1]
	v_mov_b32_e32 v40, v34
	v_mov_b32_e32 v41, v5
	;; [unrolled: 1-line block ×3, first 2 shown]
	v_pk_fma_f32 v[38:39], v[12:13], s[10:11], v[38:39] op_sel_hi:[0,1,1] neg_lo:[0,0,1] neg_hi:[0,0,1]
	v_pk_fma_f32 v[34:35], v[10:11], s[12:13], v[40:41] op_sel_hi:[1,0,1]
	v_pk_fma_f32 v[4:5], v[10:11], s[12:13], v[4:5] op_sel_hi:[1,0,1]
	v_pk_add_f32 v[10:11], v[34:35], v[36:37]
	v_pk_add_f32 v[40:41], v[4:5], v[38:39]
	v_fmac_f32_e32 v51, 0xbf737871, v186
	ds_write2_b64 v193, v[10:11], v[40:41] offset0:18 offset1:27
	v_fmac_f32_e32 v15, 0x3f737871, v187
	v_sub_f32_e32 v11, v51, v123
	v_add_f32_e32 v10, v175, v15
	v_add_f32_e32 v12, v122, v11
	;; [unrolled: 1-line block ×3, first 2 shown]
	v_pk_mul_f32 v[40:41], v[12:13], s[8:9] op_sel_hi:[0,1]
	v_mov_b32_e32 v65, v89
	v_pk_fma_f32 v[10:11], v[10:11], s[16:17], v[40:41] op_sel_hi:[0,1,1] neg_lo:[0,0,1] neg_hi:[0,0,1]
	v_pk_fma_f32 v[40:41], v[62:63], s[12:13], v[64:65] op_sel_hi:[1,0,1]
	v_pk_add_f32 v[2:3], v[52:53], v[2:3] neg_lo:[0,1] neg_hi:[0,1]
	v_pk_add_f32 v[42:43], v[40:41], v[10:11]
	ds_write2_b64 v193, v[42:43], v[2:3] offset0:36 offset1:45
	v_pk_add_f32 v[2:3], v[104:105], v[96:97] neg_lo:[0,1] neg_hi:[0,1]
	v_pk_add_f32 v[34:35], v[34:35], v[36:37] neg_lo:[0,1] neg_hi:[0,1]
	ds_write2_b64 v193, v[2:3], v[34:35] offset0:54 offset1:63
	v_pk_add_f32 v[2:3], v[4:5], v[38:39] neg_lo:[0,1] neg_hi:[0,1]
	v_pk_add_f32 v[4:5], v[40:41], v[10:11] neg_lo:[0,1] neg_hi:[0,1]
	ds_write2_b64 v193, v[2:3], v[4:5] offset0:72 offset1:81
	v_pk_add_f32 v[4:5], v[32:33], v[28:29]
	v_mov_b32_e32 v15, v13
	v_fma_f32 v4, -0.5, v4, v14
	v_fma_f32 v5, -0.5, v5, v13
	v_pk_add_f32 v[2:3], v[14:15], v[24:25]
	v_fmamk_f32 v12, v121, 0xbf737871, v4
	v_fmac_f32_e32 v4, 0x3f737871, v121
	v_fmamk_f32 v15, v120, 0x3f737871, v5
	v_fmac_f32_e32 v5, 0xbf737871, v120
	v_add_f32_e32 v10, v99, v4
	v_sub_f32_e32 v4, v5, v169
	v_add_f32_e32 v4, v168, v4
	v_pk_mul_f32 v[4:5], v[4:5], s[8:9] op_sel_hi:[0,1]
	v_add_f32_e32 v10, v98, v10
	v_pk_fma_f32 v[4:5], v[10:11], s[16:17], v[4:5] op_sel_hi:[0,1,1] neg_lo:[0,0,1] neg_hi:[0,0,1]
	v_pk_add_f32 v[10:11], v[0:1], v[26:27]
	v_pk_add_f32 v[2:3], v[2:3], v[32:33]
	;; [unrolled: 1-line block ×8, first 2 shown]
	v_pk_add_f32 v[28:29], v[10:11], v[2:3] neg_lo:[0,1] neg_hi:[0,1]
	v_pk_add_f32 v[2:3], v[10:11], v[2:3]
	v_add_f32_e32 v11, v169, v15
	v_sub_f32_e32 v10, v12, v99
	v_add_f32_e32 v12, v168, v11
	ds_write2_b64 v177, v[32:33], v[28:29] offset0:36 offset1:45
	v_add_f32_e32 v10, v98, v10
	v_pk_mul_f32 v[28:29], v[12:13], s[8:9] op_sel_hi:[0,1]
	v_pk_fma_f32 v[32:33], v[10:11], s[14:15], v[28:29] neg_lo:[0,0,1] neg_hi:[0,0,1]
	v_pk_fma_f32 v[10:11], v[10:11], s[14:15], v[28:29] op_sel_hi:[0,1,1]
	v_mov_b32_e32 v55, v73
	v_mov_b32_e32 v33, v11
	v_pk_fma_f32 v[10:11], v[20:21], s[12:13], v[54:55] op_sel_hi:[1,0,1]
	s_nop 0
	v_pk_add_f32 v[20:21], v[10:11], v[32:33]
	ds_write2_b64 v177, v[2:3], v[20:21] offset1:9
	v_pk_add_f32 v[2:3], v[26:27], v[8:9]
	v_pk_add_f32 v[8:9], v[16:17], v[8:9] neg_lo:[0,1] neg_hi:[0,1]
	v_pk_fma_f32 v[0:1], v[2:3], 0.5, v[0:1] op_sel_hi:[1,0,1] neg_lo:[1,0,0] neg_hi:[1,0,0]
	v_pk_add_f32 v[2:3], v[24:25], v[6:7]
	v_mov_b32_e32 v6, v14
	v_fmac_f32_e32 v13, -0.5, v3
	v_fmac_f32_e32 v6, -0.5, v2
	v_fmamk_f32 v14, v90, 0xbf737871, v13
	v_fmac_f32_e32 v13, 0x3f737871, v90
	v_fmamk_f32 v12, v91, 0x3f737871, v6
	v_fmac_f32_e32 v6, 0xbf737871, v91
	v_sub_f32_e32 v2, v13, v61
	v_add_f32_e32 v6, v31, v6
	v_add_f32_e32 v2, v60, v2
	v_pk_mul_f32 v[2:3], v[2:3], s[6:7] op_sel_hi:[0,1]
	v_add_f32_e32 v6, v30, v6
	v_add_f32_e32 v13, v61, v14
	v_pk_fma_f32 v[2:3], v[6:7], s[10:11], v[2:3] op_sel_hi:[0,1,1] neg_lo:[0,0,1] neg_hi:[0,0,1]
	v_pk_add_f32 v[6:7], v[18:19], v[26:27] neg_lo:[0,1] neg_hi:[0,1]
	v_sub_f32_e32 v12, v12, v31
	v_add_f32_e32 v14, v60, v13
	v_pk_add_f32 v[6:7], v[6:7], v[8:9]
	v_pk_fma_f32 v[8:9], v[46:47], s[6:7], v[0:1] op_sel:[1,0,0] op_sel_hi:[0,0,1] neg_lo:[1,0,0] neg_hi:[1,0,0]
	v_pk_fma_f32 v[0:1], v[46:47], s[6:7], v[0:1] op_sel:[1,0,0] op_sel_hi:[0,0,1]
	v_add_f32_e32 v12, v30, v12
	v_pk_mul_f32 v[14:15], v[14:15], s[6:7] op_sel_hi:[0,1]
	v_pk_fma_f32 v[0:1], v[44:45], s[8:9], v[0:1] op_sel:[1,0,0] op_sel_hi:[0,0,1] neg_lo:[1,0,0] neg_hi:[1,0,0]
	v_pk_fma_f32 v[8:9], v[44:45], s[8:9], v[8:9] op_sel:[1,0,0] op_sel_hi:[0,0,1]
	v_pk_fma_f32 v[16:17], v[12:13], s[12:13], v[14:15] neg_lo:[0,0,1] neg_hi:[0,0,1]
	v_pk_fma_f32 v[12:13], v[12:13], s[12:13], v[14:15] op_sel_hi:[0,1,1]
	v_mov_b32_e32 v17, v13
	v_mov_b32_e32 v12, v8
	;; [unrolled: 1-line block ×4, first 2 shown]
	v_pk_fma_f32 v[8:9], v[6:7], s[12:13], v[12:13] op_sel_hi:[1,0,1]
	v_pk_fma_f32 v[0:1], v[6:7], s[12:13], v[0:1] op_sel_hi:[1,0,1]
	v_pk_add_f32 v[6:7], v[8:9], v[2:3]
	v_pk_add_f32 v[12:13], v[0:1], v[16:17]
	ds_write2_b64 v177, v[12:13], v[6:7] offset0:18 offset1:27
	v_pk_add_f32 v[6:7], v[10:11], v[32:33] neg_lo:[0,1] neg_hi:[0,1]
	v_pk_add_f32 v[0:1], v[0:1], v[16:17] neg_lo:[0,1] neg_hi:[0,1]
	ds_write2_b64 v177, v[6:7], v[0:1] offset0:54 offset1:63
	v_pk_add_f32 v[0:1], v[22:23], v[4:5] neg_lo:[0,1] neg_hi:[0,1]
	v_pk_add_f32 v[2:3], v[8:9], v[2:3] neg_lo:[0,1] neg_hi:[0,1]
	ds_write2_b64 v177, v[2:3], v[0:1] offset0:72 offset1:81
	s_waitcnt lgkmcnt(0)
	s_barrier
	ds_read2_b64 v[6:9], v155 offset0:80 offset1:188
	ds_read2_b64 v[12:15], v163 offset0:120 offset1:228
	v_accvgpr_read_b32 v16, a204
	v_accvgpr_read_b32 v17, a205
	ds_read2_b64 v[18:21], v189 offset0:24 offset1:132
	s_waitcnt lgkmcnt(2)
	v_pk_mul_f32 v[2:3], v[214:215], v[8:9] op_sel:[1,0]
	s_waitcnt lgkmcnt(1)
	v_pk_mul_f32 v[10:11], v[16:17], v[14:15] op_sel:[1,0]
	v_pk_fma_f32 v[0:1], v[214:215], v[8:9], v[2:3] op_sel:[0,0,1] op_sel_hi:[1,1,0]
	v_pk_fma_f32 v[2:3], v[214:215], v[8:9], v[2:3] op_sel:[0,0,1] op_sel_hi:[0,1,0] neg_lo:[0,0,1] neg_hi:[0,0,1]
	v_pk_mul_f32 v[8:9], v[222:223], v[6:7] op_sel:[1,0]
	v_accvgpr_read_b32 v2, a198
	v_pk_fma_f32 v[4:5], v[222:223], v[6:7], v[8:9] op_sel:[0,0,1] op_sel_hi:[1,1,0]
	v_pk_fma_f32 v[6:7], v[222:223], v[6:7], v[8:9] op_sel:[0,0,1] op_sel_hi:[0,1,0] neg_lo:[0,0,1] neg_hi:[0,0,1]
	v_pk_fma_f32 v[8:9], v[16:17], v[14:15], v[10:11] op_sel:[0,0,1] op_sel_hi:[1,1,0]
	v_pk_fma_f32 v[10:11], v[16:17], v[14:15], v[10:11] op_sel:[0,0,1] op_sel_hi:[0,1,0] neg_lo:[0,0,1] neg_hi:[0,0,1]
	v_pk_mul_f32 v[14:15], v[228:229], v[12:13] op_sel:[1,0]
	ds_read2_b64 v[28:31], v139 offset0:96 offset1:204
	v_pk_fma_f32 v[38:39], v[228:229], v[12:13], v[14:15] op_sel:[0,0,1] op_sel_hi:[1,1,0]
	v_pk_fma_f32 v[40:41], v[228:229], v[12:13], v[14:15] op_sel:[0,0,1] op_sel_hi:[0,1,0] neg_lo:[0,0,1] neg_hi:[0,0,1]
	ds_read2_b64 v[14:17], v159 offset0:32 offset1:140
	s_mov_b32 s6, 0.5
	s_mov_b32 s7, s2
	s_mov_b32 s8, -0.5
	s_mov_b32 s9, s2
	s_waitcnt lgkmcnt(0)
	v_pk_mul_f32 v[12:13], v[226:227], v[16:17] op_sel:[1,0]
	v_accvgpr_read_b32 v1, a111
	v_pk_fma_f32 v[32:33], v[226:227], v[16:17], v[12:13] op_sel:[0,0,1] op_sel_hi:[1,1,0]
	v_pk_fma_f32 v[34:35], v[226:227], v[16:17], v[12:13] op_sel:[0,0,1] op_sel_hi:[0,1,0] neg_lo:[0,0,1] neg_hi:[0,0,1]
	v_pk_mul_f32 v[16:17], v[2:3], v[14:15] op_sel_hi:[0,1]
	v_pk_fma_f32 v[12:13], v[78:79], v[14:15], v[16:17] op_sel:[0,0,1] op_sel_hi:[1,1,0]
	v_pk_fma_f32 v[36:37], v[78:79], v[14:15], v[16:17] op_sel:[0,0,1] op_sel_hi:[0,1,0] neg_lo:[0,0,1] neg_hi:[0,0,1]
	v_pk_mul_f32 v[16:17], v[76:77], v[20:21] op_sel:[1,0]
	v_accvgpr_read_b32 v2, a166
	v_pk_fma_f32 v[14:15], v[76:77], v[20:21], v[16:17] op_sel:[0,0,1] op_sel_hi:[1,1,0]
	v_pk_fma_f32 v[16:17], v[76:77], v[20:21], v[16:17] op_sel:[0,0,1] op_sel_hi:[0,1,0] neg_lo:[0,0,1] neg_hi:[0,0,1]
	v_pk_mul_f32 v[20:21], v[108:109], v[18:19] op_sel:[1,0]
	v_mov_b32_e32 v33, v35
	v_pk_fma_f32 v[26:27], v[108:109], v[18:19], v[20:21] op_sel:[0,0,1] op_sel_hi:[1,1,0]
	v_pk_fma_f32 v[42:43], v[108:109], v[18:19], v[20:21] op_sel:[0,0,1] op_sel_hi:[0,1,0] neg_lo:[0,0,1] neg_hi:[0,0,1]
	ds_read2_b64 v[18:21], v250 offset0:72 offset1:180
	v_mov_b32_e32 v13, v37
	v_mov_b32_e32 v39, v41
	;; [unrolled: 1-line block ×4, first 2 shown]
	s_waitcnt lgkmcnt(0)
	v_pk_mul_f32 v[22:23], v[2:3], v[20:21] op_sel_hi:[0,1]
	v_accvgpr_read_b32 v2, a168
	v_pk_fma_f32 v[24:25], v[110:111], v[20:21], v[22:23] op_sel:[0,0,1] op_sel_hi:[1,1,0]
	v_pk_fma_f32 v[44:45], v[110:111], v[20:21], v[22:23] op_sel:[0,0,1] op_sel_hi:[0,1,0] neg_lo:[0,0,1] neg_hi:[0,0,1]
	v_pk_mul_f32 v[20:21], v[2:3], v[18:19] op_sel_hi:[0,1]
	v_pk_fma_f32 v[46:47], v[118:119], v[18:19], v[20:21] op_sel:[0,0,1] op_sel_hi:[1,1,0]
	v_pk_fma_f32 v[48:49], v[118:119], v[18:19], v[20:21] op_sel:[0,0,1] op_sel_hi:[0,1,0] neg_lo:[0,0,1] neg_hi:[0,0,1]
	ds_read2_b64 v[18:21], v87 offset0:64 offset1:172
	v_accvgpr_read_b32 v2, a188
	v_mov_b32_e32 v47, v49
	v_mov_b32_e32 v25, v45
	s_waitcnt lgkmcnt(0)
	v_pk_mul_f32 v[22:23], v[116:117], v[20:21] op_sel:[1,0]
	s_nop 0
	v_pk_fma_f32 v[50:51], v[116:117], v[20:21], v[22:23] op_sel:[0,0,1] op_sel_hi:[1,1,0]
	v_pk_fma_f32 v[52:53], v[116:117], v[20:21], v[22:23] op_sel:[0,0,1] op_sel_hi:[0,1,0] neg_lo:[0,0,1] neg_hi:[0,0,1]
	v_pk_mul_f32 v[20:21], v[132:133], v[18:19] op_sel:[1,0]
	v_mov_b32_e32 v51, v53
	v_pk_fma_f32 v[54:55], v[132:133], v[18:19], v[20:21] op_sel:[0,0,1] op_sel_hi:[1,1,0]
	v_pk_fma_f32 v[60:61], v[132:133], v[18:19], v[20:21] op_sel:[0,0,1] op_sel_hi:[0,1,0] neg_lo:[0,0,1] neg_hi:[0,0,1]
	ds_read2_b64 v[18:21], v251 offset0:112 offset1:220
	v_mov_b32_e32 v55, v61
	v_pk_add_f32 v[40:41], v[54:55], v[38:39]
	v_pk_add_f32 v[60:61], v[54:55], v[38:39] neg_lo:[0,1] neg_hi:[0,1]
	v_pk_add_f32 v[10:11], v[50:51], v[8:9]
	s_waitcnt lgkmcnt(0)
	v_pk_mul_f32 v[22:23], v[2:3], v[20:21] op_sel_hi:[0,1]
	v_accvgpr_read_b32 v2, a190
	v_pk_fma_f32 v[62:63], v[134:135], v[20:21], v[22:23] op_sel:[0,0,1] op_sel_hi:[1,1,0]
	v_pk_fma_f32 v[64:65], v[134:135], v[20:21], v[22:23] op_sel:[0,0,1] op_sel_hi:[0,1,0] neg_lo:[0,0,1] neg_hi:[0,0,1]
	v_pk_mul_f32 v[20:21], v[2:3], v[18:19] op_sel_hi:[0,1]
	v_pk_fma_f32 v[66:67], v[142:143], v[18:19], v[20:21] op_sel:[0,0,1] op_sel_hi:[1,1,0]
	v_pk_fma_f32 v[72:73], v[142:143], v[18:19], v[20:21] op_sel:[0,0,1] op_sel_hi:[0,1,0] neg_lo:[0,0,1] neg_hi:[0,0,1]
	ds_read2_b64 v[18:21], v83 offset0:104 offset1:212
	v_accvgpr_read_b32 v2, a184
	v_mov_b32_e32 v67, v73
	v_mov_b32_e32 v63, v65
	s_waitcnt lgkmcnt(0)
	v_pk_mul_f32 v[22:23], v[140:141], v[20:21] op_sel:[1,0]
	s_nop 0
	v_pk_fma_f32 v[74:75], v[140:141], v[20:21], v[22:23] op_sel:[0,0,1] op_sel_hi:[1,1,0]
	v_pk_fma_f32 v[76:77], v[140:141], v[20:21], v[22:23] op_sel:[0,0,1] op_sel_hi:[0,1,0] neg_lo:[0,0,1] neg_hi:[0,0,1]
	v_pk_mul_f32 v[20:21], v[2:3], v[18:19] op_sel_hi:[0,1]
	v_pk_fma_f32 v[22:23], v[70:71], v[18:19], v[20:21] op_sel:[0,0,1] op_sel_hi:[1,1,0]
	v_pk_fma_f32 v[88:89], v[70:71], v[18:19], v[20:21] op_sel:[0,0,1] op_sel_hi:[0,1,0] neg_lo:[0,0,1] neg_hi:[0,0,1]
	v_pk_mul_f32 v[18:19], v[68:69], v[30:31] op_sel:[1,0]
	v_accvgpr_read_b32 v2, a154
	v_pk_fma_f32 v[20:21], v[68:69], v[30:31], v[18:19] op_sel:[0,0,1] op_sel_hi:[0,1,0]
	v_pk_fma_f32 v[18:19], v[68:69], v[30:31], v[18:19] op_sel:[0,0,1] op_sel_hi:[0,1,0] neg_lo:[0,0,1] neg_hi:[0,0,1]
	v_pk_mul_f32 v[30:31], v[92:93], v[28:29] op_sel:[1,0]
	v_mov_b32_e32 v75, v77
	v_pk_fma_f32 v[68:69], v[92:93], v[28:29], v[30:31] op_sel:[0,0,1] op_sel_hi:[0,1,0]
	v_pk_fma_f32 v[90:91], v[92:93], v[28:29], v[30:31] op_sel:[0,0,1] op_sel_hi:[0,1,0] neg_lo:[0,0,1] neg_hi:[0,0,1]
	ds_read2_b64 v[28:31], v247 offset0:16 offset1:124
	v_pk_add_f32 v[72:73], v[74:75], v[32:33] neg_lo:[0,1] neg_hi:[0,1]
	v_mov_b32_e32 v23, v89
	v_mov_b32_e32 v69, v91
	;; [unrolled: 1-line block ×3, first 2 shown]
	s_waitcnt lgkmcnt(0)
	v_pk_mul_f32 v[92:93], v[2:3], v[30:31] op_sel_hi:[0,1]
	v_accvgpr_read_b32 v2, a158
	v_pk_fma_f32 v[96:97], v[94:95], v[30:31], v[92:93] op_sel:[0,0,1] op_sel_hi:[1,1,0]
	v_pk_fma_f32 v[92:93], v[94:95], v[30:31], v[92:93] op_sel:[0,0,1] op_sel_hi:[0,1,0] neg_lo:[0,0,1] neg_hi:[0,0,1]
	v_pk_mul_f32 v[30:31], v[2:3], v[28:29] op_sel_hi:[0,1]
	v_pk_fma_f32 v[98:99], v[102:103], v[28:29], v[30:31] op_sel:[0,0,1] op_sel_hi:[1,1,0]
	v_pk_fma_f32 v[104:105], v[102:103], v[28:29], v[30:31] op_sel:[0,0,1] op_sel_hi:[0,1,0] neg_lo:[0,0,1] neg_hi:[0,0,1]
	ds_read2_b64 v[28:31], v147 offset0:136 offset1:244
	v_accvgpr_read_b32 v2, a180
	v_mov_b32_e32 v99, v105
	v_mov_b32_e32 v97, v93
	s_waitcnt lgkmcnt(0)
	v_pk_mul_f32 v[106:107], v[100:101], v[30:31] op_sel:[1,0]
	s_nop 0
	v_pk_fma_f32 v[108:109], v[100:101], v[30:31], v[106:107] op_sel:[0,0,1] op_sel_hi:[0,1,0]
	v_pk_fma_f32 v[100:101], v[100:101], v[30:31], v[106:107] op_sel:[0,0,1] op_sel_hi:[0,1,0] neg_lo:[0,0,1] neg_hi:[0,0,1]
	v_pk_mul_f32 v[30:31], v[124:125], v[28:29] op_sel:[1,0]
	v_mov_b32_e32 v109, v101
	v_pk_fma_f32 v[106:107], v[124:125], v[28:29], v[30:31] op_sel:[0,0,1] op_sel_hi:[0,1,0]
	v_pk_fma_f32 v[112:113], v[124:125], v[28:29], v[30:31] op_sel:[0,0,1] op_sel_hi:[0,1,0] neg_lo:[0,0,1] neg_hi:[0,0,1]
	ds_read2_b64 v[28:31], v176 offset0:56 offset1:164
	v_mov_b32_e32 v107, v113
	v_pk_add_f32 v[54:55], v[106:107], v[54:55]
	v_fmac_f32_e32 v106, -0.5, v40
	v_fmac_f32_e32 v113, -0.5, v41
	s_waitcnt lgkmcnt(0)
	v_pk_mul_f32 v[114:115], v[2:3], v[30:31] op_sel_hi:[0,1]
	v_accvgpr_read_b32 v2, a182
	v_pk_fma_f32 v[116:117], v[126:127], v[30:31], v[114:115] op_sel:[0,0,1] op_sel_hi:[1,1,0]
	v_pk_fma_f32 v[114:115], v[126:127], v[30:31], v[114:115] op_sel:[0,0,1] op_sel_hi:[0,1,0] neg_lo:[0,0,1] neg_hi:[0,0,1]
	v_pk_mul_f32 v[30:31], v[2:3], v[28:29] op_sel_hi:[0,1]
	v_pk_fma_f32 v[120:121], v[130:131], v[28:29], v[30:31] op_sel:[0,0,1] op_sel_hi:[1,1,0]
	v_pk_fma_f32 v[122:123], v[130:131], v[28:29], v[30:31] op_sel:[0,0,1] op_sel_hi:[0,1,0] neg_lo:[0,0,1] neg_hi:[0,0,1]
	ds_read2_b64 v[28:31], v249 offset0:48 offset1:156
	v_mov_b32_e32 v121, v123
	v_pk_add_f32 v[36:37], v[120:121], v[66:67] neg_lo:[0,1] neg_hi:[0,1]
	v_mov_b32_e32 v117, v115
	v_pk_add_f32 v[40:41], v[116:117], v[62:63] neg_lo:[0,1] neg_hi:[0,1]
	s_waitcnt lgkmcnt(0)
	v_pk_mul_f32 v[124:125], v[128:129], v[30:31] op_sel:[1,0]
	v_pk_add_f32 v[38:39], v[54:55], v[38:39]
	v_pk_fma_f32 v[132:133], v[128:129], v[30:31], v[124:125] op_sel:[0,0,1] op_sel_hi:[0,1,0]
	v_pk_fma_f32 v[124:125], v[128:129], v[30:31], v[124:125] op_sel:[0,0,1] op_sel_hi:[0,1,0] neg_lo:[0,0,1] neg_hi:[0,0,1]
	v_mov_b32_e32 v133, v125
	v_pk_add_f32 v[30:31], v[74:75], v[32:33]
	v_pk_add_f32 v[34:35], v[132:133], v[74:75]
	v_fmac_f32_e32 v132, -0.5, v30
	v_pk_add_f32 v[74:75], v[34:35], v[32:33]
	v_fmac_f32_e32 v125, -0.5, v31
	ds_read2_b64 v[30:33], v180 offset1:108
	v_fmamk_f32 v2, v72, 0x3f5db3d7, v125
	v_fmac_f32_e32 v125, 0xbf5db3d7, v72
	v_fmac_f32_e32 v101, -0.5, v11
	s_waitcnt lgkmcnt(0)
	v_pk_add_f32 v[34:35], v[30:31], v[120:121]
	s_nop 0
	v_pk_add_f32 v[76:77], v[34:35], v[66:67]
	v_pk_add_f32 v[34:35], v[120:121], v[66:67]
	v_pk_add_f32 v[66:67], v[22:23], v[12:13] neg_lo:[0,1] neg_hi:[0,1]
	v_pk_fma_f32 v[30:31], v[34:35], 0.5, v[30:31] op_sel_hi:[1,0,1] neg_lo:[1,0,0] neg_hi:[1,0,0]
	v_pk_mul_f32 v[66:67], v[66:67], s[2:3] op_sel_hi:[1,0]
	s_mov_b32 s3, s6
	v_pk_mul_f32 v[34:35], v[36:37], s[2:3] op_sel_hi:[1,0]
	v_pk_add_f32 v[128:129], v[76:77], v[74:75]
	v_pk_add_f32 v[88:89], v[30:31], v[34:35] op_sel:[0,1] op_sel_hi:[1,0] neg_lo:[0,1] neg_hi:[0,1]
	v_pk_add_f32 v[30:31], v[30:31], v[34:35] op_sel:[0,1] op_sel_hi:[1,0]
	v_pk_mul_f32 v[34:35], v[2:3], s[2:3] op_sel_hi:[0,1]
	v_fmamk_f32 v2, v73, 0xbf5db3d7, v132
	v_pk_fma_f32 v[120:121], v[2:3], s[6:7], v[34:35] neg_lo:[0,0,1] neg_hi:[0,0,1]
	v_pk_fma_f32 v[34:35], v[2:3], s[6:7], v[34:35] op_sel_hi:[0,1,1]
	v_mov_b32_e32 v121, v35
	v_mov_b32_e32 v122, v88
	;; [unrolled: 1-line block ×3, first 2 shown]
	v_pk_add_f32 v[140:141], v[122:123], v[120:121]
	v_mov_b32_e32 v2, v125
	ds_read2_b64 v[34:37], v167 offset0:88 offset1:196
	s_waitcnt lgkmcnt(0)
	s_barrier
	ds_write2_b64 v71, v[128:129], v[140:141] offset1:90
	v_fmac_f32_e32 v132, 0x3f5db3d7, v73
	v_pk_mul_f32 v[70:71], v[2:3], s[2:3] op_sel_hi:[0,1]
	v_pk_fma_f32 v[70:71], v[132:133], s[8:9], v[70:71] op_sel_hi:[0,1,1] neg_lo:[0,0,1] neg_hi:[0,0,1]
	v_mov_b32_e32 v31, v89
	v_pk_add_f32 v[72:73], v[76:77], v[74:75] neg_lo:[0,1] neg_hi:[0,1]
	v_pk_add_f32 v[74:75], v[30:31], v[70:71]
	ds_write2_b64 v1, v[74:75], v[72:73] offset0:52 offset1:142
	v_pk_add_f32 v[72:73], v[122:123], v[120:121] neg_lo:[0,1] neg_hi:[0,1]
	v_pk_add_f32 v[30:31], v[30:31], v[70:71] neg_lo:[0,1] neg_hi:[0,1]
	v_accvgpr_read_b32 v1, a113
	ds_write2_b64 v1, v[72:73], v[30:31] offset0:104 offset1:194
	v_pk_add_f32 v[30:31], v[116:117], v[62:63]
	v_pk_mul_f32 v[40:41], v[40:41], s[2:3] op_sel_hi:[1,0]
	v_pk_fma_f32 v[30:31], v[30:31], 0.5, v[32:33] op_sel_hi:[1,0,1] neg_lo:[1,0,0] neg_hi:[1,0,0]
	v_fmamk_f32 v2, v60, 0x3f5db3d7, v113
	v_pk_add_f32 v[32:33], v[32:33], v[116:117]
	v_pk_add_f32 v[54:55], v[30:31], v[40:41] op_sel:[0,1] op_sel_hi:[1,0] neg_lo:[0,1] neg_hi:[0,1]
	v_pk_add_f32 v[30:31], v[30:31], v[40:41] op_sel:[0,1] op_sel_hi:[1,0]
	v_pk_mul_f32 v[40:41], v[2:3], s[2:3] op_sel_hi:[0,1]
	v_fmamk_f32 v2, v61, 0xbf5db3d7, v106
	v_fmac_f32_e32 v113, 0xbf5db3d7, v60
	v_pk_add_f32 v[32:33], v[32:33], v[62:63]
	v_pk_fma_f32 v[62:63], v[2:3], s[6:7], v[40:41] neg_lo:[0,0,1] neg_hi:[0,0,1]
	v_pk_fma_f32 v[40:41], v[2:3], s[6:7], v[40:41] op_sel_hi:[0,1,1]
	v_mov_b32_e32 v2, v113
	v_fmac_f32_e32 v106, 0x3f5db3d7, v61
	v_pk_mul_f32 v[60:61], v[2:3], s[2:3] op_sel_hi:[0,1]
	v_mov_b32_e32 v63, v41
	v_mov_b32_e32 v41, v31
	v_pk_fma_f32 v[60:61], v[106:107], s[8:9], v[60:61] op_sel_hi:[0,1,1] neg_lo:[0,0,1] neg_hi:[0,0,1]
	v_mov_b32_e32 v31, v55
	v_mov_b32_e32 v40, v54
	v_pk_add_f32 v[64:65], v[32:33], v[38:39]
	v_pk_add_f32 v[32:33], v[32:33], v[38:39] neg_lo:[0,1] neg_hi:[0,1]
	v_pk_add_f32 v[38:39], v[30:31], v[60:61]
	v_accvgpr_read_b32 v1, a117
	ds_write2_b64 v1, v[38:39], v[32:33] offset0:52 offset1:142
	v_pk_add_f32 v[32:33], v[40:41], v[62:63] neg_lo:[0,1] neg_hi:[0,1]
	v_pk_add_f32 v[30:31], v[30:31], v[60:61] neg_lo:[0,1] neg_hi:[0,1]
	v_accvgpr_read_b32 v1, a119
	ds_write2_b64 v1, v[32:33], v[30:31] offset0:104 offset1:194
	v_pk_add_f32 v[30:31], v[98:99], v[46:47]
	v_pk_add_f32 v[32:33], v[98:99], v[46:47] neg_lo:[0,1] neg_hi:[0,1]
	v_pk_fma_f32 v[30:31], v[30:31], 0.5, v[34:35] op_sel_hi:[1,0,1] neg_lo:[1,0,0] neg_hi:[1,0,0]
	v_pk_mul_f32 v[32:33], v[32:33], s[2:3] op_sel_hi:[1,0]
	v_pk_add_f32 v[70:71], v[40:41], v[62:63]
	v_pk_add_f32 v[38:39], v[30:31], v[32:33] op_sel:[0,1] op_sel_hi:[1,0] neg_lo:[0,1] neg_hi:[0,1]
	v_pk_add_f32 v[30:31], v[32:33], v[30:31] op_sel:[1,0] op_sel_hi:[0,1]
	v_pk_add_f32 v[32:33], v[50:51], v[8:9] neg_lo:[0,1] neg_hi:[0,1]
	v_pk_add_f32 v[40:41], v[108:109], v[50:51]
	v_fmac_f32_e32 v108, -0.5, v10
	v_fmamk_f32 v2, v32, 0x3f5db3d7, v101
	v_fmac_f32_e32 v101, 0xbf5db3d7, v32
	v_pk_add_f32 v[10:11], v[34:35], v[98:99]
	v_fmamk_f32 v1, v33, 0xbf5db3d7, v108
	v_mul_f32_e32 v5, 0xbf5db3d7, v2
	v_mul_f32_e32 v6, 0.5, v2
	v_mov_b32_e32 v2, v101
	v_pk_add_f32 v[8:9], v[40:41], v[8:9]
	v_pk_add_f32 v[10:11], v[10:11], v[46:47]
	v_fmac_f32_e32 v5, 0.5, v1
	v_fmac_f32_e32 v6, 0x3f5db3d7, v1
	v_fmac_f32_e32 v108, 0x3f5db3d7, v33
	v_pk_mul_f32 v[32:33], v[2:3], s[2:3] op_sel_hi:[0,1]
	v_add_f32_e32 v34, v38, v5
	v_add_f32_e32 v35, v31, v6
	v_pk_add_f32 v[40:41], v[10:11], v[8:9]
	v_pk_fma_f32 v[32:33], v[108:109], s[8:9], v[32:33] op_sel_hi:[0,1,1] neg_lo:[0,0,1] neg_hi:[0,0,1]
	v_pk_add_f32 v[8:9], v[10:11], v[8:9] neg_lo:[0,1] neg_hi:[0,1]
	v_mov_b32_e32 v10, v30
	v_mov_b32_e32 v11, v39
	ds_write2_b64 v79, v[64:65], v[70:71] offset1:90
	ds_write2_b64 v119, v[40:41], v[34:35] offset1:90
	v_pk_add_f32 v[34:35], v[10:11], v[32:33]
	ds_write2_b64 v143, v[34:35], v[8:9] offset0:52 offset1:142
	v_sub_f32_e32 v8, v38, v5
	v_sub_f32_e32 v9, v31, v6
	v_pk_add_f32 v[10:11], v[10:11], v[32:33] neg_lo:[0,1] neg_hi:[0,1]
	ds_write2_b64 v135, v[8:9], v[10:11] offset0:104 offset1:194
	v_pk_add_f32 v[8:9], v[96:97], v[24:25]
	v_pk_add_f32 v[30:31], v[96:97], v[24:25] neg_lo:[0,1] neg_hi:[0,1]
	v_mov_b32_e32 v5, v7
	v_pk_fma_f32 v[8:9], v[8:9], 0.5, v[36:37] op_sel_hi:[1,0,1] neg_lo:[1,0,0] neg_hi:[1,0,0]
	v_pk_mul_f32 v[30:31], v[30:31], s[2:3] op_sel_hi:[1,0]
	v_pk_add_f32 v[6:7], v[26:27], v[4:5]
	v_pk_add_f32 v[32:33], v[8:9], v[30:31] op_sel:[0,1] op_sel_hi:[1,0] neg_lo:[0,1] neg_hi:[0,1]
	v_pk_add_f32 v[8:9], v[30:31], v[8:9] op_sel:[1,0] op_sel_hi:[0,1]
	v_pk_add_f32 v[30:31], v[26:27], v[4:5] neg_lo:[0,1] neg_hi:[0,1]
	v_fmac_f32_e32 v91, -0.5, v7
	v_pk_add_f32 v[26:27], v[68:69], v[26:27]
	v_fmac_f32_e32 v68, -0.5, v6
	v_fmamk_f32 v2, v30, 0x3f5db3d7, v91
	v_pk_add_f32 v[10:11], v[36:37], v[96:97]
	v_fmamk_f32 v1, v31, 0xbf5db3d7, v68
	v_mul_f32_e32 v15, 0xbf5db3d7, v2
	v_mul_f32_e32 v16, 0.5, v2
	v_pk_add_f32 v[4:5], v[26:27], v[4:5]
	v_pk_add_f32 v[6:7], v[10:11], v[24:25]
	v_fmac_f32_e32 v15, 0.5, v1
	v_fmac_f32_e32 v16, 0x3f5db3d7, v1
	v_fmac_f32_e32 v91, 0xbf5db3d7, v30
	v_add_f32_e32 v10, v32, v15
	v_add_f32_e32 v11, v9, v16
	v_pk_add_f32 v[24:25], v[6:7], v[4:5]
	v_mov_b32_e32 v2, v91
	ds_write2_b64 v127, v[24:25], v[10:11] offset1:90
	v_fmac_f32_e32 v68, 0x3f5db3d7, v31
	v_pk_mul_f32 v[10:11], v[2:3], s[2:3] op_sel_hi:[0,1]
	v_pk_fma_f32 v[10:11], v[68:69], s[8:9], v[10:11] op_sel_hi:[0,1,1] neg_lo:[0,0,1] neg_hi:[0,0,1]
	v_pk_add_f32 v[4:5], v[6:7], v[4:5] neg_lo:[0,1] neg_hi:[0,1]
	v_mov_b32_e32 v6, v8
	v_mov_b32_e32 v7, v33
	v_pk_add_f32 v[24:25], v[6:7], v[10:11]
	ds_write2_b64 v111, v[24:25], v[4:5] offset0:52 offset1:142
	v_sub_f32_e32 v4, v32, v15
	v_mov_b32_e32 v15, v17
	v_mov_b32_e32 v1, v3
	v_sub_f32_e32 v5, v9, v16
	v_pk_add_f32 v[6:7], v[6:7], v[10:11] neg_lo:[0,1] neg_hi:[0,1]
	v_pk_add_f32 v[2:3], v[14:15], v[0:1]
	ds_write2_b64 v95, v[4:5], v[6:7] offset0:104 offset1:194
	v_pk_add_f32 v[6:7], v[28:29], v[22:23]
	v_pk_add_f32 v[10:11], v[14:15], v[0:1] neg_lo:[0,1] neg_hi:[0,1]
	v_fmac_f32_e32 v19, -0.5, v3
	v_pk_add_f32 v[4:5], v[22:23], v[12:13]
	v_pk_add_f32 v[14:15], v[20:21], v[14:15]
	v_fmac_f32_e32 v20, -0.5, v2
	v_pk_add_f32 v[2:3], v[6:7], v[12:13]
	v_fmamk_f32 v7, v10, 0x3f5db3d7, v19
	v_pk_fma_f32 v[4:5], v[4:5], 0.5, v[28:29] op_sel_hi:[1,0,1] neg_lo:[1,0,0] neg_hi:[1,0,0]
	v_pk_add_f32 v[0:1], v[14:15], v[0:1]
	v_fmamk_f32 v6, v11, 0xbf5db3d7, v20
	v_mul_f32_e32 v14, 0xbf5db3d7, v7
	v_mul_f32_e32 v15, 0.5, v7
	v_pk_add_f32 v[8:9], v[4:5], v[66:67] op_sel:[0,1] op_sel_hi:[1,0] neg_lo:[0,1] neg_hi:[0,1]
	v_pk_add_f32 v[4:5], v[66:67], v[4:5] op_sel:[1,0] op_sel_hi:[0,1]
	v_fmac_f32_e32 v14, 0.5, v6
	v_fmac_f32_e32 v15, 0x3f5db3d7, v6
	v_add_f32_e32 v6, v8, v14
	v_add_f32_e32 v7, v5, v15
	v_pk_add_f32 v[12:13], v[2:3], v[0:1]
	v_fmac_f32_e32 v19, 0xbf5db3d7, v10
	ds_write2_b64 v131, v[12:13], v[6:7] offset1:90
	v_sub_f32_e32 v6, v8, v14
	v_mov_b32_e32 v8, v4
	v_mov_b32_e32 v4, v19
	v_sub_f32_e32 v7, v5, v15
	v_fmac_f32_e32 v20, 0x3f5db3d7, v11
	v_pk_mul_f32 v[4:5], v[4:5], s[2:3] op_sel_hi:[0,1]
	v_pk_fma_f32 v[4:5], v[20:21], s[8:9], v[4:5] op_sel_hi:[0,1,1] neg_lo:[0,0,1] neg_hi:[0,0,1]
	v_pk_add_f32 v[0:1], v[2:3], v[0:1] neg_lo:[0,1] neg_hi:[0,1]
	v_pk_add_f32 v[2:3], v[8:9], v[4:5] neg_lo:[0,1] neg_hi:[0,1]
	v_pk_add_f32 v[4:5], v[8:9], v[4:5]
	ds_write2_b64 v181, v[4:5], v[0:1] offset0:52 offset1:142
	ds_write2_b64 v103, v[6:7], v[2:3] offset0:104 offset1:194
	s_waitcnt lgkmcnt(0)
	s_barrier
	ds_read2_b64 v[0:3], v163 offset0:120 offset1:228
	ds_read2_b64 v[4:7], v155 offset0:80 offset1:188
	;; [unrolled: 1-line block ×4, first 2 shown]
	s_waitcnt lgkmcnt(3)
	v_pk_mul_f32 v[10:11], v[206:207], v[0:1] op_sel:[1,0]
	s_nop 0
	v_pk_fma_f32 v[8:9], v[206:207], v[0:1], v[10:11] op_sel:[0,0,1] op_sel_hi:[1,1,0]
	v_pk_fma_f32 v[28:29], v[206:207], v[0:1], v[10:11] op_sel:[0,0,1] op_sel_hi:[0,1,0] neg_lo:[0,0,1] neg_hi:[0,0,1]
	v_pk_mul_f32 v[0:1], v[208:209], v[2:3] op_sel:[1,0]
	s_waitcnt lgkmcnt(2)
	v_pk_mul_f32 v[10:11], v[204:205], v[4:5] op_sel:[1,0]
	v_pk_fma_f32 v[20:21], v[208:209], v[2:3], v[0:1] op_sel:[0,0,1] op_sel_hi:[1,1,0]
	v_pk_fma_f32 v[22:23], v[208:209], v[2:3], v[0:1] op_sel:[0,0,1] op_sel_hi:[0,1,0] neg_lo:[0,0,1] neg_hi:[0,0,1]
	ds_read2_b64 v[0:3], v159 offset0:32 offset1:140
	v_pk_fma_f32 v[26:27], v[204:205], v[4:5], v[10:11] op_sel:[0,0,1] op_sel_hi:[1,1,0]
	v_pk_fma_f32 v[40:41], v[204:205], v[4:5], v[10:11] op_sel:[0,0,1] op_sel_hi:[0,1,0] neg_lo:[0,0,1] neg_hi:[0,0,1]
	v_pk_mul_f32 v[4:5], v[210:211], v[6:7] op_sel:[1,0]
	v_mov_b32_e32 v9, v29
	v_pk_fma_f32 v[10:11], v[210:211], v[6:7], v[4:5] op_sel:[0,0,1] op_sel_hi:[1,1,0]
	v_pk_fma_f32 v[34:35], v[210:211], v[6:7], v[4:5] op_sel:[0,0,1] op_sel_hi:[0,1,0] neg_lo:[0,0,1] neg_hi:[0,0,1]
	s_waitcnt lgkmcnt(0)
	v_pk_mul_f32 v[4:5], v[218:219], v[2:3] op_sel:[1,0]
	v_pk_mul_f32 v[6:7], v[164:165], v[14:15] op_sel:[1,0]
	v_pk_fma_f32 v[42:43], v[218:219], v[2:3], v[4:5] op_sel:[0,0,1] op_sel_hi:[1,1,0]
	v_pk_fma_f32 v[44:45], v[218:219], v[2:3], v[4:5] op_sel:[0,0,1] op_sel_hi:[0,1,0] neg_lo:[0,0,1] neg_hi:[0,0,1]
	v_accvgpr_read_b32 v2, a212
	v_pk_mul_f32 v[2:3], v[2:3], v[0:1] op_sel_hi:[0,1]
	v_pk_fma_f32 v[4:5], v[166:167], v[0:1], v[2:3] op_sel:[0,0,1] op_sel_hi:[1,1,0]
	v_pk_fma_f32 v[46:47], v[166:167], v[0:1], v[2:3] op_sel:[0,0,1] op_sel_hi:[0,1,0] neg_lo:[0,0,1] neg_hi:[0,0,1]
	ds_read2_b64 v[0:3], v250 offset0:72 offset1:180
	v_pk_fma_f32 v[18:19], v[164:165], v[14:15], v[6:7] op_sel:[0,0,1] op_sel_hi:[1,1,0]
	v_pk_fma_f32 v[48:49], v[164:165], v[14:15], v[6:7] op_sel:[0,0,1] op_sel_hi:[0,1,0] neg_lo:[0,0,1] neg_hi:[0,0,1]
	v_pk_mul_f32 v[6:7], v[160:161], v[12:13] op_sel:[1,0]
	v_mov_b32_e32 v43, v45
	v_pk_fma_f32 v[50:51], v[160:161], v[12:13], v[6:7] op_sel:[0,0,1] op_sel_hi:[1,1,0]
	v_pk_fma_f32 v[52:53], v[160:161], v[12:13], v[6:7] op_sel:[0,0,1] op_sel_hi:[0,1,0] neg_lo:[0,0,1] neg_hi:[0,0,1]
	v_accvgpr_read_b32 v6, a210
	s_waitcnt lgkmcnt(0)
	v_pk_mul_f32 v[16:17], v[6:7], v[2:3] op_sel_hi:[0,1]
	ds_read2_b64 v[12:15], v87 offset0:64 offset1:172
	v_pk_fma_f32 v[6:7], v[162:163], v[2:3], v[16:17] op_sel:[0,0,1] op_sel_hi:[1,1,0]
	v_pk_fma_f32 v[54:55], v[162:163], v[2:3], v[16:17] op_sel:[0,0,1] op_sel_hi:[0,1,0] neg_lo:[0,0,1] neg_hi:[0,0,1]
	v_accvgpr_read_b32 v2, a206
	v_pk_mul_f32 v[2:3], v[2:3], v[0:1] op_sel_hi:[0,1]
	v_pk_fma_f32 v[16:17], v[158:159], v[0:1], v[2:3] op_sel:[0,0,1] op_sel_hi:[1,1,0]
	v_pk_fma_f32 v[60:61], v[158:159], v[0:1], v[2:3] op_sel:[0,0,1] op_sel_hi:[0,1,0] neg_lo:[0,0,1] neg_hi:[0,0,1]
	ds_read2_b64 v[0:3], v251 offset0:112 offset1:220
	s_waitcnt lgkmcnt(1)
	v_pk_mul_f32 v[24:25], v[156:157], v[14:15] op_sel:[1,0]
	v_mov_b32_e32 v21, v23
	v_pk_fma_f32 v[62:63], v[156:157], v[14:15], v[24:25] op_sel:[0,0,1] op_sel_hi:[1,1,0]
	v_pk_fma_f32 v[64:65], v[156:157], v[14:15], v[24:25] op_sel:[0,0,1] op_sel_hi:[0,1,0] neg_lo:[0,0,1] neg_hi:[0,0,1]
	v_pk_mul_f32 v[14:15], v[84:85], v[12:13] op_sel:[1,0]
	v_mov_b32_e32 v63, v65
	v_pk_fma_f32 v[66:67], v[84:85], v[12:13], v[14:15] op_sel:[0,0,1] op_sel_hi:[1,1,0]
	v_pk_fma_f32 v[68:69], v[84:85], v[12:13], v[14:15] op_sel:[0,0,1] op_sel_hi:[0,1,0] neg_lo:[0,0,1] neg_hi:[0,0,1]
	v_accvgpr_read_b32 v12, a200
	s_waitcnt lgkmcnt(0)
	v_pk_mul_f32 v[24:25], v[12:13], v[2:3] op_sel_hi:[0,1]
	ds_read2_b64 v[12:15], v83 offset0:104 offset1:212
	v_pk_fma_f32 v[32:33], v[86:87], v[2:3], v[24:25] op_sel:[0,0,1] op_sel_hi:[1,1,0]
	v_pk_fma_f32 v[70:71], v[86:87], v[2:3], v[24:25] op_sel:[0,0,1] op_sel_hi:[0,1,0] neg_lo:[0,0,1] neg_hi:[0,0,1]
	v_accvgpr_read_b32 v2, a194
	v_pk_mul_f32 v[2:3], v[2:3], v[0:1] op_sel_hi:[0,1]
	v_pk_fma_f32 v[72:73], v[146:147], v[0:1], v[2:3] op_sel:[0,0,1] op_sel_hi:[1,1,0]
	v_pk_fma_f32 v[74:75], v[146:147], v[0:1], v[2:3] op_sel:[0,0,1] op_sel_hi:[0,1,0] neg_lo:[0,0,1] neg_hi:[0,0,1]
	ds_read2_b64 v[0:3], v139 offset0:96 offset1:204
	s_waitcnt lgkmcnt(1)
	v_pk_mul_f32 v[24:25], v[144:145], v[14:15] op_sel:[1,0]
	v_mov_b32_e32 v67, v69
	v_pk_fma_f32 v[76:77], v[144:145], v[14:15], v[24:25] op_sel:[0,0,1] op_sel_hi:[1,1,0]
	v_pk_fma_f32 v[78:79], v[144:145], v[14:15], v[24:25] op_sel:[0,0,1] op_sel_hi:[0,1,0] neg_lo:[0,0,1] neg_hi:[0,0,1]
	v_accvgpr_read_b32 v14, a202
	v_pk_mul_f32 v[24:25], v[14:15], v[12:13] op_sel_hi:[0,1]
	v_pk_fma_f32 v[14:15], v[154:155], v[12:13], v[24:25] op_sel:[0,0,1] op_sel_hi:[1,1,0]
	v_pk_fma_f32 v[84:85], v[154:155], v[12:13], v[24:25] op_sel:[0,0,1] op_sel_hi:[0,1,0] neg_lo:[0,0,1] neg_hi:[0,0,1]
	s_waitcnt lgkmcnt(0)
	v_pk_mul_f32 v[12:13], v[152:153], v[2:3] op_sel:[1,0]
	v_mov_b32_e32 v77, v79
	v_pk_fma_f32 v[86:87], v[152:153], v[2:3], v[12:13] op_sel:[0,0,1] op_sel_hi:[0,1,0]
	v_pk_fma_f32 v[12:13], v[152:153], v[2:3], v[12:13] op_sel:[0,0,1] op_sel_hi:[0,1,0] neg_lo:[0,0,1] neg_hi:[0,0,1]
	v_pk_mul_f32 v[2:3], v[148:149], v[0:1] op_sel:[1,0]
	v_accvgpr_read_b32 v12, a192
	v_pk_fma_f32 v[88:89], v[148:149], v[0:1], v[2:3] op_sel:[0,0,1] op_sel_hi:[0,1,0]
	v_pk_fma_f32 v[24:25], v[148:149], v[0:1], v[2:3] op_sel:[0,0,1] op_sel_hi:[0,1,0] neg_lo:[0,0,1] neg_hi:[0,0,1]
	v_mov_b32_e32 v0, v151
	v_pk_mul_f32 v[90:91], v[0:1], v[38:39] op_sel_hi:[0,1]
	ds_read2_b64 v[0:3], v147 offset0:136 offset1:244
	v_pk_fma_f32 v[30:31], v[150:151], v[38:39], v[90:91] op_sel:[0,0,1] op_sel_hi:[1,1,0]
	v_pk_fma_f32 v[90:91], v[150:151], v[38:39], v[90:91] op_sel:[0,0,1] op_sel_hi:[0,1,0] neg_lo:[0,0,1] neg_hi:[0,0,1]
	v_pk_mul_f32 v[38:39], v[12:13], v[36:37] op_sel_hi:[0,1]
	v_pk_fma_f32 v[92:93], v[138:139], v[36:37], v[38:39] op_sel:[0,0,1] op_sel_hi:[1,1,0]
	v_pk_fma_f32 v[94:95], v[138:139], v[36:37], v[38:39] op_sel:[0,0,1] op_sel_hi:[0,1,0] neg_lo:[0,0,1] neg_hi:[0,0,1]
	ds_read2_b64 v[36:39], v176 offset0:56 offset1:164
	s_waitcnt lgkmcnt(1)
	v_pk_mul_f32 v[96:97], v[136:137], v[2:3] op_sel:[1,0]
	v_accvgpr_read_b32 v12, a134
	v_pk_fma_f32 v[98:99], v[136:137], v[2:3], v[96:97] op_sel:[0,0,1] op_sel_hi:[0,1,0]
	v_pk_fma_f32 v[96:97], v[136:137], v[2:3], v[96:97] op_sel:[0,0,1] op_sel_hi:[0,1,0] neg_lo:[0,0,1] neg_hi:[0,0,1]
	v_pk_mul_f32 v[2:3], v[80:81], v[0:1] op_sel:[1,0]
	v_pk_add_f32 v[28:29], v[66:67], v[8:9]
	v_pk_fma_f32 v[100:101], v[80:81], v[0:1], v[2:3] op_sel:[0,0,1] op_sel_hi:[0,1,0]
	v_pk_fma_f32 v[80:81], v[80:81], v[0:1], v[2:3] op_sel:[0,0,1] op_sel_hi:[0,1,0] neg_lo:[0,0,1] neg_hi:[0,0,1]
	v_accvgpr_read_b32 v0, a136
	s_waitcnt lgkmcnt(0)
	v_pk_mul_f32 v[102:103], v[0:1], v[38:39] op_sel_hi:[0,1]
	ds_read2_b64 v[0:3], v249 offset0:48 offset1:156
	v_pk_fma_f32 v[104:105], v[82:83], v[38:39], v[102:103] op_sel:[0,0,1] op_sel_hi:[1,1,0]
	v_pk_fma_f32 v[38:39], v[82:83], v[38:39], v[102:103] op_sel:[0,0,1] op_sel_hi:[0,1,0] neg_lo:[0,0,1] neg_hi:[0,0,1]
	v_pk_mul_f32 v[82:83], v[12:13], v[36:37] op_sel_hi:[0,1]
	v_pk_fma_f32 v[102:103], v[58:59], v[36:37], v[82:83] op_sel:[0,0,1] op_sel_hi:[1,1,0]
	v_pk_fma_f32 v[36:37], v[58:59], v[36:37], v[82:83] op_sel:[0,0,1] op_sel_hi:[0,1,0] neg_lo:[0,0,1] neg_hi:[0,0,1]
	s_waitcnt lgkmcnt(0)
	v_pk_mul_f32 v[58:59], v[56:57], v[2:3] op_sel:[1,0]
	v_mov_b32_e32 v103, v37
	v_pk_fma_f32 v[82:83], v[56:57], v[2:3], v[58:59] op_sel:[0,0,1] op_sel_hi:[0,1,0]
	v_pk_fma_f32 v[2:3], v[56:57], v[2:3], v[58:59] op_sel:[0,0,1] op_sel_hi:[0,1,0] neg_lo:[0,0,1] neg_hi:[0,0,1]
	v_mov_b32_e32 v83, v3
	v_pk_add_f32 v[36:37], v[76:77], v[42:43]
	v_mov_b32_e32 v101, v81
	v_pk_add_f32 v[56:57], v[82:83], v[76:77]
	v_fmac_f32_e32 v82, -0.5, v36
	v_fmac_f32_e32 v3, -0.5, v37
	v_mov_b32_e32 v105, v39
	v_pk_add_f32 v[36:37], v[66:67], v[8:9] neg_lo:[0,1] neg_hi:[0,1]
	v_pk_add_f32 v[38:39], v[100:101], v[66:67]
	v_fmac_f32_e32 v100, -0.5, v28
	v_fmac_f32_e32 v81, -0.5, v29
	v_mov_b32_e32 v99, v97
	v_fmamk_f32 v24, v37, 0xbf5db3d7, v100
	v_fmac_f32_e32 v100, 0x3f5db3d7, v37
	v_fmamk_f32 v34, v36, 0x3f5db3d7, v81
	v_fmac_f32_e32 v81, 0xbf5db3d7, v36
	v_pk_add_f32 v[22:23], v[62:63], v[20:21]
	v_pk_add_f32 v[36:37], v[98:99], v[62:63]
	v_mov_b32_e32 v51, v53
	v_mov_b32_e32 v89, v25
	;; [unrolled: 1-line block ×3, first 2 shown]
	v_pk_add_f32 v[44:45], v[76:77], v[42:43] neg_lo:[0,1] neg_hi:[0,1]
	v_pk_add_f32 v[28:29], v[62:63], v[20:21] neg_lo:[0,1] neg_hi:[0,1]
	v_pk_add_f32 v[36:37], v[36:37], v[20:21]
	v_fmac_f32_e32 v98, -0.5, v22
	v_fmac_f32_e32 v97, -0.5, v23
	v_pk_add_f32 v[20:21], v[50:51], v[26:27]
	v_pk_add_f32 v[22:23], v[88:89], v[50:51]
	v_fmamk_f32 v2, v45, 0xbf5db3d7, v82
	v_fmac_f32_e32 v82, 0x3f5db3d7, v45
	v_fmamk_f32 v12, v44, 0x3f5db3d7, v3
	v_fmac_f32_e32 v3, 0xbf5db3d7, v44
	v_pk_add_f32 v[44:45], v[22:23], v[26:27]
	v_fmac_f32_e32 v88, -0.5, v20
	v_fmac_f32_e32 v25, -0.5, v21
	ds_read2_b64 v[20:23], v180 offset1:108
	v_mov_b32_e32 v73, v75
	v_pk_add_f32 v[8:9], v[38:39], v[8:9]
	v_fmamk_f32 v38, v29, 0xbf5db3d7, v98
	v_fmac_f32_e32 v98, 0x3f5db3d7, v29
	v_fmamk_f32 v40, v28, 0x3f5db3d7, v97
	v_fmac_f32_e32 v97, 0xbf5db3d7, v28
	v_pk_add_f32 v[28:29], v[50:51], v[26:27] neg_lo:[0,1] neg_hi:[0,1]
	s_waitcnt lgkmcnt(0)
	v_pk_add_f32 v[26:27], v[20:21], v[102:103]
	v_pk_add_f32 v[42:43], v[56:57], v[42:43]
	;; [unrolled: 1-line block ×3, first 2 shown]
	v_fmamk_f32 v46, v29, 0xbf5db3d7, v88
	v_pk_add_f32 v[50:51], v[26:27], v[42:43]
	v_pk_add_f32 v[42:43], v[26:27], v[42:43] neg_lo:[0,1] neg_hi:[0,1]
	v_fmac_f32_e32 v88, 0x3f5db3d7, v29
	v_fmamk_f32 v48, v28, 0x3f5db3d7, v25
	v_fmac_f32_e32 v25, 0xbf5db3d7, v28
	ds_read2_b64 v[26:29], v167 offset0:88 offset1:196
	ds_write_b64 v180, v[42:43] offset:12960
	v_pk_add_f32 v[42:43], v[102:103], v[72:73]
	v_pk_add_f32 v[52:53], v[102:103], v[72:73] neg_lo:[0,1] neg_hi:[0,1]
	v_pk_fma_f32 v[20:21], v[42:43], 0.5, v[20:21] op_sel_hi:[1,0,1] neg_lo:[1,0,0] neg_hi:[1,0,0]
	v_pk_mul_f32 v[42:43], v[52:53], s[2:3] op_sel_hi:[1,0]
	v_mov_b32_e32 v7, v55
	v_pk_add_f32 v[52:53], v[20:21], v[42:43] op_sel:[0,1] op_sel_hi:[1,0] neg_lo:[0,1] neg_hi:[0,1]
	v_pk_add_f32 v[20:21], v[20:21], v[42:43] op_sel:[0,1] op_sel_hi:[1,0]
	v_pk_mul_f32 v[42:43], v[12:13], s[2:3] op_sel_hi:[0,1]
	v_pk_fma_f32 v[54:55], v[2:3], s[6:7], v[42:43] neg_lo:[0,0,1] neg_hi:[0,0,1]
	v_pk_fma_f32 v[42:43], v[2:3], s[6:7], v[42:43] op_sel_hi:[0,1,1]
	v_mov_b32_e32 v2, v3
	v_pk_mul_f32 v[2:3], v[2:3], s[2:3] op_sel_hi:[0,1]
	v_mov_b32_e32 v33, v71
	v_mov_b32_e32 v55, v43
	v_pk_add_f32 v[42:43], v[22:23], v[104:105]
	v_pk_fma_f32 v[2:3], v[82:83], s[8:9], v[2:3] op_sel_hi:[0,1,1] neg_lo:[0,0,1] neg_hi:[0,0,1]
	v_mov_b32_e32 v57, v21
	v_mov_b32_e32 v21, v53
	v_pk_add_f32 v[42:43], v[42:43], v[32:33]
	v_mov_b32_e32 v56, v52
	v_pk_add_f32 v[52:53], v[20:21], v[2:3]
	ds_write_b64 v180, v[52:53] offset:8640
	v_pk_add_f32 v[52:53], v[56:57], v[54:55]
	v_pk_add_f32 v[54:55], v[56:57], v[54:55] neg_lo:[0,1] neg_hi:[0,1]
	v_pk_add_f32 v[56:57], v[42:43], v[8:9]
	v_pk_add_f32 v[2:3], v[20:21], v[2:3] neg_lo:[0,1] neg_hi:[0,1]
	ds_write_b64 v180, v[54:55] offset:17280
	ds_write_b64 v180, v[2:3] offset:21600
	;; [unrolled: 1-line block ×3, first 2 shown]
	ds_write2_b64 v180, v[50:51], v[56:57] offset1:108
	v_pk_add_f32 v[56:57], v[104:105], v[32:33]
	v_pk_add_f32 v[32:33], v[104:105], v[32:33] neg_lo:[0,1] neg_hi:[0,1]
	v_pk_fma_f32 v[22:23], v[56:57], 0.5, v[22:23] op_sel_hi:[1,0,1] neg_lo:[1,0,0] neg_hi:[1,0,0]
	v_pk_mul_f32 v[32:33], v[32:33], s[2:3] op_sel_hi:[1,0]
	v_mov_b32_e32 v17, v61
	v_pk_add_f32 v[60:61], v[22:23], v[32:33] op_sel:[0,1] op_sel_hi:[1,0] neg_lo:[0,1] neg_hi:[0,1]
	v_pk_add_f32 v[22:23], v[22:23], v[32:33] op_sel:[0,1] op_sel_hi:[1,0]
	v_pk_mul_f32 v[32:33], v[34:35], s[2:3] op_sel_hi:[0,1]
	v_mov_b32_e32 v11, v35
	v_pk_fma_f32 v[34:35], v[24:25], s[6:7], v[32:33] neg_lo:[0,0,1] neg_hi:[0,0,1]
	v_pk_fma_f32 v[32:33], v[24:25], s[6:7], v[32:33] op_sel_hi:[0,1,1]
	v_mov_b32_e32 v93, v95
	v_mov_b32_e32 v62, v60
	;; [unrolled: 1-line block ×4, first 2 shown]
	s_waitcnt lgkmcnt(6)
	v_pk_add_f32 v[54:55], v[26:27], v[92:93]
	v_pk_add_f32 v[32:33], v[62:63], v[34:35]
	v_pk_add_f32 v[34:35], v[62:63], v[34:35] neg_lo:[0,1] neg_hi:[0,1]
	v_pk_add_f32 v[54:55], v[54:55], v[16:17]
	ds_write_b64 v180, v[34:35] offset:18144
	v_pk_add_f32 v[34:35], v[92:93], v[16:17]
	v_pk_add_f32 v[16:17], v[92:93], v[16:17] neg_lo:[0,1] neg_hi:[0,1]
	v_mov_b32_e32 v24, v81
	v_pk_fma_f32 v[26:27], v[34:35], 0.5, v[26:27] op_sel_hi:[1,0,1] neg_lo:[1,0,0] neg_hi:[1,0,0]
	v_pk_mul_f32 v[16:17], v[16:17], s[2:3] op_sel_hi:[1,0]
	v_pk_mul_f32 v[40:41], v[40:41], s[2:3] op_sel_hi:[0,1]
	;; [unrolled: 1-line block ×3, first 2 shown]
	v_pk_add_f32 v[8:9], v[42:43], v[8:9] neg_lo:[0,1] neg_hi:[0,1]
	v_pk_add_f32 v[34:35], v[26:27], v[16:17] op_sel:[0,1] op_sel_hi:[1,0] neg_lo:[0,1] neg_hi:[0,1]
	v_pk_add_f32 v[16:17], v[26:27], v[16:17] op_sel:[0,1] op_sel_hi:[1,0]
	v_pk_fma_f32 v[42:43], v[38:39], s[6:7], v[40:41] neg_lo:[0,0,1] neg_hi:[0,0,1]
	v_pk_fma_f32 v[38:39], v[38:39], s[6:7], v[40:41] op_sel_hi:[0,1,1]
	v_pk_fma_f32 v[64:65], v[100:101], s[8:9], v[64:65] op_sel_hi:[0,1,1] neg_lo:[0,0,1] neg_hi:[0,0,1]
	v_mov_b32_e32 v23, v61
	v_mov_b32_e32 v26, v34
	;; [unrolled: 1-line block ×4, first 2 shown]
	v_pk_add_f32 v[60:61], v[22:23], v[64:65]
	v_pk_add_f32 v[38:39], v[26:27], v[42:43]
	v_mov_b32_e32 v24, v97
	v_mov_b32_e32 v31, v91
	ds_write_b64 v180, v[60:61] offset:9504
	ds_write2_b64 v147, v[32:33], v[38:39] offset0:136 offset1:244
	v_pk_mul_f32 v[32:33], v[24:25], s[2:3] op_sel_hi:[0,1]
	v_pk_add_f32 v[2:3], v[28:29], v[30:31]
	v_pk_fma_f32 v[32:33], v[98:99], s[8:9], v[32:33] op_sel_hi:[0,1,1] neg_lo:[0,0,1] neg_hi:[0,0,1]
	v_mov_b32_e32 v17, v35
	v_pk_add_f32 v[20:21], v[54:55], v[36:37]
	v_pk_add_f32 v[2:3], v[2:3], v[6:7]
	v_pk_add_f32 v[22:23], v[22:23], v[64:65] neg_lo:[0,1] neg_hi:[0,1]
	v_pk_add_f32 v[34:35], v[16:17], v[32:33]
	v_pk_add_f32 v[36:37], v[54:55], v[36:37] neg_lo:[0,1] neg_hi:[0,1]
	v_pk_add_f32 v[16:17], v[16:17], v[32:33] neg_lo:[0,1] neg_hi:[0,1]
	v_pk_add_f32 v[52:53], v[2:3], v[44:45]
	ds_write2_b64 v246, v[8:9], v[36:37] offset0:64 offset1:172
	ds_write2_b64 v163, v[22:23], v[16:17] offset0:120 offset1:228
	;; [unrolled: 1-line block ×3, first 2 shown]
	v_pk_add_f32 v[16:17], v[30:31], v[6:7]
	v_pk_add_f32 v[6:7], v[30:31], v[6:7] neg_lo:[0,1] neg_hi:[0,1]
	v_pk_fma_f32 v[16:17], v[16:17], 0.5, v[28:29] op_sel_hi:[1,0,1] neg_lo:[1,0,0] neg_hi:[1,0,0]
	v_pk_mul_f32 v[6:7], v[6:7], s[2:3] op_sel_hi:[1,0]
	v_pk_mul_f32 v[22:23], v[48:49], s[2:3] op_sel_hi:[0,1]
	v_pk_add_f32 v[20:21], v[16:17], v[6:7] op_sel:[0,1] op_sel_hi:[1,0] neg_lo:[0,1] neg_hi:[0,1]
	v_pk_add_f32 v[6:7], v[16:17], v[6:7] op_sel:[0,1] op_sel_hi:[1,0]
	v_mov_b32_e32 v16, v20
	v_mov_b32_e32 v20, v25
	v_pk_mul_f32 v[24:25], v[20:21], s[2:3] op_sel_hi:[0,1]
	v_pk_add_f32 v[8:9], v[26:27], v[42:43] neg_lo:[0,1] neg_hi:[0,1]
	v_mov_b32_e32 v17, v7
	v_pk_fma_f32 v[26:27], v[46:47], s[6:7], v[22:23] neg_lo:[0,0,1] neg_hi:[0,0,1]
	v_pk_fma_f32 v[22:23], v[46:47], s[6:7], v[22:23] op_sel_hi:[0,1,1]
	v_pk_fma_f32 v[24:25], v[88:89], s[8:9], v[24:25] op_sel_hi:[0,1,1] neg_lo:[0,0,1] neg_hi:[0,0,1]
	v_mov_b32_e32 v7, v21
	v_mov_b32_e32 v15, v85
	;; [unrolled: 1-line block ×5, first 2 shown]
	v_pk_add_f32 v[20:21], v[6:7], v[24:25]
	v_pk_add_f32 v[2:3], v[2:3], v[44:45] neg_lo:[0,1] neg_hi:[0,1]
	v_mov_b32_e32 v5, v47
	v_pk_add_f32 v[50:51], v[0:1], v[14:15]
	v_pk_add_f32 v[56:57], v[18:19], v[10:11]
	v_mov_b32_e32 v12, v86
	v_pk_add_f32 v[58:59], v[86:87], v[18:19]
	ds_write2_b64 v247, v[34:35], v[20:21] offset0:16 offset1:124
	ds_write_b64 v180, v[2:3] offset:15552
	v_pk_add_f32 v[2:3], v[16:17], v[26:27] neg_lo:[0,1] neg_hi:[0,1]
	v_pk_add_f32 v[50:51], v[50:51], v[4:5]
	v_fmac_f32_e32 v12, -0.5, v56
	v_pk_add_f32 v[18:19], v[18:19], v[10:11] neg_lo:[0,1] neg_hi:[0,1]
	v_pk_add_f32 v[10:11], v[58:59], v[10:11]
	v_fmac_f32_e32 v13, -0.5, v57
	ds_write2_b64 v250, v[8:9], v[2:3] offset0:72 offset1:180
	v_pk_add_f32 v[2:3], v[6:7], v[24:25] neg_lo:[0,1] neg_hi:[0,1]
	v_fmamk_f32 v56, v19, 0xbf5db3d7, v12
	v_fmac_f32_e32 v12, 0x3f5db3d7, v19
	v_fmamk_f32 v58, v18, 0x3f5db3d7, v13
	v_fmac_f32_e32 v13, 0xbf5db3d7, v18
	v_pk_add_f32 v[18:19], v[50:51], v[10:11]
	ds_write_b64 v180, v[2:3] offset:24192
	ds_write_b64 v180, v[18:19] offset:3456
	v_pk_add_f32 v[2:3], v[14:15], v[4:5]
	v_pk_mul_f32 v[6:7], v[58:59], s[2:3] op_sel_hi:[0,1]
	v_pk_fma_f32 v[0:1], v[2:3], 0.5, v[0:1] op_sel_hi:[1,0,1] neg_lo:[1,0,0] neg_hi:[1,0,0]
	v_pk_add_f32 v[2:3], v[14:15], v[4:5] neg_lo:[0,1] neg_hi:[0,1]
	v_pk_fma_f32 v[8:9], v[56:57], s[6:7], v[6:7] neg_lo:[0,0,1] neg_hi:[0,0,1]
	v_pk_mul_f32 v[2:3], v[2:3], s[2:3] op_sel_hi:[1,0]
	v_pk_fma_f32 v[6:7], v[56:57], s[6:7], v[6:7] op_sel_hi:[0,1,1]
	v_pk_add_f32 v[4:5], v[0:1], v[2:3] op_sel:[0,1] op_sel_hi:[1,0] neg_lo:[0,1] neg_hi:[0,1]
	v_pk_add_f32 v[0:1], v[0:1], v[2:3] op_sel:[0,1] op_sel_hi:[1,0]
	v_mov_b32_e32 v2, v4
	v_mov_b32_e32 v3, v1
	;; [unrolled: 1-line block ×3, first 2 shown]
	v_pk_add_f32 v[22:23], v[16:17], v[26:27]
	v_pk_add_f32 v[6:7], v[2:3], v[8:9]
	v_mov_b32_e32 v4, v13
	ds_write2_b64 v139, v[22:23], v[6:7] offset0:96 offset1:204
	v_pk_mul_f32 v[6:7], v[4:5], s[2:3] op_sel_hi:[0,1]
	v_pk_fma_f32 v[6:7], v[12:13], s[8:9], v[6:7] op_sel_hi:[0,1,1] neg_lo:[0,0,1] neg_hi:[0,0,1]
	v_mov_b32_e32 v1, v5
	v_pk_add_f32 v[4:5], v[0:1], v[6:7]
	ds_write_b64 v180, v[4:5] offset:12096
	v_pk_add_f32 v[4:5], v[50:51], v[10:11] neg_lo:[0,1] neg_hi:[0,1]
	v_pk_add_f32 v[2:3], v[2:3], v[8:9] neg_lo:[0,1] neg_hi:[0,1]
	;; [unrolled: 1-line block ×3, first 2 shown]
	ds_write_b64 v180, v[4:5] offset:16416
	ds_write_b64 v180, v[2:3] offset:20736
	;; [unrolled: 1-line block ×3, first 2 shown]
	s_waitcnt lgkmcnt(0)
	s_barrier
	ds_read2_b64 v[0:3], v180 offset1:108
	v_accvgpr_read_b32 v6, a26
	v_accvgpr_read_b32 v7, a27
	v_mov_b32_e32 v8, s0
	v_mov_b32_e32 v9, s1
	s_waitcnt lgkmcnt(0)
	v_mul_f32_e32 v4, v7, v1
	v_fmac_f32_e32 v4, v6, v0
	v_mul_f32_e32 v0, v7, v0
	s_mov_b32 s0, 0x30abee4d
	v_fma_f32 v0, v6, v1, -v0
	s_mov_b32 s1, 0x3f343a27
	v_cvt_f64_f32_e32 v[0:1], v0
	v_cvt_f64_f32_e32 v[4:5], v4
	v_mul_f64 v[0:1], v[0:1], s[0:1]
	v_mul_f64 v[4:5], v[4:5], s[0:1]
	v_cvt_f32_f64_e32 v11, v[0:1]
	v_mad_u64_u32 v[0:1], s[2:3], s4, v188, 0
	v_cvt_f32_f64_e32 v10, v[4:5]
	v_mov_b32_e32 v4, v1
	v_accvgpr_read_b32 v14, a0
	v_accvgpr_read_b32 v15, a2
	v_mad_u64_u32 v[12:13], s[2:3], s5, v188, v[4:5]
	ds_read2_b64 v[4:7], v176 offset0:56 offset1:164
	v_mov_b32_e32 v1, v12
	v_lshl_add_u64 v[8:9], v[14:15], 3, v[8:9]
	v_lshl_add_u64 v[0:1], v[0:1], 3, v[8:9]
	global_store_dwordx2 v[0:1], v[10:11], off
	v_accvgpr_read_b32 v10, a20
	v_accvgpr_read_b32 v11, a21
	s_waitcnt lgkmcnt(0)
	v_mul_f32_e32 v8, v11, v5
	v_fmac_f32_e32 v8, v10, v4
	v_cvt_f64_f32_e32 v[8:9], v8
	v_mul_f32_e32 v4, v11, v4
	v_mul_f64 v[8:9], v[8:9], s[0:1]
	v_fma_f32 v4, v10, v5, -v4
	v_mov_b32_e32 v14, 0x21c0
	v_cvt_f32_f64_e32 v12, v[8:9]
	v_cvt_f64_f32_e32 v[4:5], v4
	ds_read2_b64 v[8:11], v251 offset0:112 offset1:220
	v_mad_u64_u32 v[0:1], s[2:3], s4, v14, v[0:1]
	v_mul_f64 v[4:5], v[4:5], s[0:1]
	s_mul_i32 s2, s5, 0x21c0
	v_cvt_f32_f64_e32 v13, v[4:5]
	v_add_u32_e32 v1, s2, v1
	global_store_dwordx2 v[0:1], v[12:13], off
	v_accvgpr_read_b32 v12, a62
	v_accvgpr_read_b32 v13, a63
	s_waitcnt lgkmcnt(0)
	v_mul_f32_e32 v4, v13, v9
	v_fmac_f32_e32 v4, v12, v8
	v_cvt_f64_f32_e32 v[4:5], v4
	v_mul_f64 v[4:5], v[4:5], s[0:1]
	v_cvt_f32_f64_e32 v4, v[4:5]
	v_mul_f32_e32 v5, v13, v8
	v_fma_f32 v5, v12, v9, -v5
	v_cvt_f64_f32_e32 v[8:9], v5
	v_mul_f64 v[8:9], v[8:9], s[0:1]
	v_cvt_f32_f64_e32 v5, v[8:9]
	v_mad_u64_u32 v[0:1], s[6:7], s4, v14, v[0:1]
	v_accvgpr_read_b32 v8, a60
	v_add_u32_e32 v1, s2, v1
	v_accvgpr_read_b32 v9, a61
	global_store_dwordx2 v[0:1], v[4:5], off
	v_mul_f32_e32 v4, v9, v3
	v_fmac_f32_e32 v4, v8, v2
	v_mul_f32_e32 v2, v9, v2
	v_fma_f32 v2, v8, v3, -v2
	v_cvt_f64_f32_e32 v[4:5], v4
	v_cvt_f64_f32_e32 v[2:3], v2
	v_mov_b32_e32 v12, 0xffffbfe0
	s_mul_i32 s3, s5, 0xffffbfe0
	v_mul_f64 v[4:5], v[4:5], s[0:1]
	v_mul_f64 v[2:3], v[2:3], s[0:1]
	v_mad_u64_u32 v[0:1], s[6:7], s4, v12, v[0:1]
	s_sub_i32 s3, s3, s4
	v_cvt_f32_f64_e32 v4, v[4:5]
	v_cvt_f32_f64_e32 v5, v[2:3]
	v_add_u32_e32 v1, s3, v1
	global_store_dwordx2 v[0:1], v[4:5], off
	v_accvgpr_read_b32 v4, a58
	v_accvgpr_read_b32 v5, a59
	v_mul_f32_e32 v2, v5, v7
	v_fmac_f32_e32 v2, v4, v6
	v_cvt_f64_f32_e32 v[2:3], v2
	v_mul_f64 v[2:3], v[2:3], s[0:1]
	v_cvt_f32_f64_e32 v2, v[2:3]
	v_mul_f32_e32 v3, v5, v6
	v_fma_f32 v3, v4, v7, -v3
	v_cvt_f64_f32_e32 v[4:5], v3
	v_mov_b32_e32 v14, 0x21c0
	v_mul_f64 v[4:5], v[4:5], s[0:1]
	v_cvt_f32_f64_e32 v3, v[4:5]
	v_mad_u64_u32 v[4:5], s[6:7], s4, v14, v[0:1]
	v_add_u32_e32 v5, s2, v5
	global_store_dwordx2 v[4:5], v[2:3], off
	v_accvgpr_read_b32 v2, a56
	v_accvgpr_read_b32 v3, a57
	v_mul_f32_e32 v0, v3, v11
	v_fmac_f32_e32 v0, v2, v10
	v_cvt_f64_f32_e32 v[0:1], v0
	v_mul_f64 v[0:1], v[0:1], s[0:1]
	v_cvt_f32_f64_e32 v6, v[0:1]
	v_mul_f32_e32 v0, v3, v10
	v_fma_f32 v0, v2, v11, -v0
	v_cvt_f64_f32_e32 v[0:1], v0
	v_mul_f64 v[0:1], v[0:1], s[0:1]
	v_cvt_f32_f64_e32 v7, v[0:1]
	ds_read2_b64 v[0:3], v167 offset0:88 offset1:196
	v_mad_u64_u32 v[8:9], s[6:7], s4, v14, v[4:5]
	v_add_u32_e32 v9, s2, v9
	global_store_dwordx2 v[8:9], v[6:7], off
	v_accvgpr_read_b32 v6, a54
	v_accvgpr_read_b32 v7, a55
	s_waitcnt lgkmcnt(0)
	v_mul_f32_e32 v4, v7, v1
	v_fmac_f32_e32 v4, v6, v0
	v_mul_f32_e32 v0, v7, v0
	v_cvt_f64_f32_e32 v[4:5], v4
	v_fma_f32 v0, v6, v1, -v0
	v_mul_f64 v[4:5], v[4:5], s[0:1]
	v_cvt_f64_f32_e32 v[0:1], v0
	v_cvt_f32_f64_e32 v10, v[4:5]
	v_mul_f64 v[0:1], v[0:1], s[0:1]
	ds_read2_b64 v[4:7], v247 offset0:16 offset1:124
	v_cvt_f32_f64_e32 v11, v[0:1]
	v_mad_u64_u32 v[0:1], s[6:7], s4, v12, v[8:9]
	v_add_u32_e32 v1, s3, v1
	global_store_dwordx2 v[0:1], v[10:11], off
	v_accvgpr_read_b32 v10, a52
	v_accvgpr_read_b32 v11, a53
	s_waitcnt lgkmcnt(0)
	v_mul_f32_e32 v8, v11, v5
	v_fmac_f32_e32 v8, v10, v4
	v_cvt_f64_f32_e32 v[8:9], v8
	v_mul_f32_e32 v4, v11, v4
	v_mul_f64 v[8:9], v[8:9], s[0:1]
	v_fma_f32 v4, v10, v5, -v4
	v_cvt_f32_f64_e32 v12, v[8:9]
	v_cvt_f64_f32_e32 v[4:5], v4
	ds_read2_b64 v[8:11], v250 offset0:72 offset1:180
	v_mul_f64 v[4:5], v[4:5], s[0:1]
	v_mad_u64_u32 v[0:1], s[6:7], s4, v14, v[0:1]
	v_cvt_f32_f64_e32 v13, v[4:5]
	v_add_u32_e32 v1, s2, v1
	global_store_dwordx2 v[0:1], v[12:13], off
	v_accvgpr_read_b32 v12, a50
	v_accvgpr_read_b32 v13, a51
	s_waitcnt lgkmcnt(0)
	v_mul_f32_e32 v4, v13, v9
	v_fmac_f32_e32 v4, v12, v8
	v_cvt_f64_f32_e32 v[4:5], v4
	v_mul_f64 v[4:5], v[4:5], s[0:1]
	v_cvt_f32_f64_e32 v4, v[4:5]
	v_mul_f32_e32 v5, v13, v8
	v_fma_f32 v5, v12, v9, -v5
	v_cvt_f64_f32_e32 v[8:9], v5
	v_mul_f64 v[8:9], v[8:9], s[0:1]
	v_cvt_f32_f64_e32 v5, v[8:9]
	v_mad_u64_u32 v[0:1], s[6:7], s4, v14, v[0:1]
	v_accvgpr_read_b32 v8, a46
	v_add_u32_e32 v1, s2, v1
	v_accvgpr_read_b32 v9, a47
	global_store_dwordx2 v[0:1], v[4:5], off
	v_mul_f32_e32 v4, v9, v3
	v_fmac_f32_e32 v4, v8, v2
	v_mul_f32_e32 v2, v9, v2
	v_fma_f32 v2, v8, v3, -v2
	v_cvt_f64_f32_e32 v[4:5], v4
	v_cvt_f64_f32_e32 v[2:3], v2
	v_mov_b32_e32 v12, 0xffffbfe0
	v_mul_f64 v[4:5], v[4:5], s[0:1]
	v_mul_f64 v[2:3], v[2:3], s[0:1]
	v_mad_u64_u32 v[0:1], s[6:7], s4, v12, v[0:1]
	v_cvt_f32_f64_e32 v4, v[4:5]
	v_cvt_f32_f64_e32 v5, v[2:3]
	v_add_u32_e32 v1, s3, v1
	global_store_dwordx2 v[0:1], v[4:5], off
	v_accvgpr_read_b32 v4, a42
	v_accvgpr_read_b32 v5, a43
	v_mul_f32_e32 v2, v5, v7
	v_fmac_f32_e32 v2, v4, v6
	v_cvt_f64_f32_e32 v[2:3], v2
	v_mul_f64 v[2:3], v[2:3], s[0:1]
	v_cvt_f32_f64_e32 v2, v[2:3]
	v_mul_f32_e32 v3, v5, v6
	v_fma_f32 v3, v4, v7, -v3
	v_cvt_f64_f32_e32 v[4:5], v3
	v_mul_f64 v[4:5], v[4:5], s[0:1]
	v_cvt_f32_f64_e32 v3, v[4:5]
	v_mad_u64_u32 v[4:5], s[6:7], s4, v14, v[0:1]
	v_add_u32_e32 v5, s2, v5
	global_store_dwordx2 v[4:5], v[2:3], off
	v_accvgpr_read_b32 v2, a38
	v_accvgpr_read_b32 v3, a39
	v_mul_f32_e32 v0, v3, v11
	v_fmac_f32_e32 v0, v2, v10
	v_cvt_f64_f32_e32 v[0:1], v0
	v_mul_f64 v[0:1], v[0:1], s[0:1]
	v_cvt_f32_f64_e32 v6, v[0:1]
	v_mul_f32_e32 v0, v3, v10
	v_fma_f32 v0, v2, v11, -v0
	v_cvt_f64_f32_e32 v[0:1], v0
	v_mul_f64 v[0:1], v[0:1], s[0:1]
	v_cvt_f32_f64_e32 v7, v[0:1]
	ds_read2_b64 v[0:3], v249 offset0:48 offset1:156
	v_mad_u64_u32 v[8:9], s[6:7], s4, v14, v[4:5]
	v_add_u32_e32 v9, s2, v9
	global_store_dwordx2 v[8:9], v[6:7], off
	v_accvgpr_read_b32 v6, a34
	v_accvgpr_read_b32 v7, a35
	s_waitcnt lgkmcnt(0)
	v_mul_f32_e32 v4, v7, v1
	v_fmac_f32_e32 v4, v6, v0
	v_mul_f32_e32 v0, v7, v0
	v_cvt_f64_f32_e32 v[4:5], v4
	v_fma_f32 v0, v6, v1, -v0
	v_mul_f64 v[4:5], v[4:5], s[0:1]
	v_cvt_f64_f32_e32 v[0:1], v0
	v_cvt_f32_f64_e32 v10, v[4:5]
	v_mul_f64 v[0:1], v[0:1], s[0:1]
	ds_read2_b64 v[4:7], v248 offset0:104 offset1:212
	v_cvt_f32_f64_e32 v11, v[0:1]
	v_mad_u64_u32 v[0:1], s[6:7], s4, v12, v[8:9]
	v_add_u32_e32 v1, s3, v1
	global_store_dwordx2 v[0:1], v[10:11], off
	v_accvgpr_read_b32 v10, a30
	v_accvgpr_read_b32 v11, a31
	s_waitcnt lgkmcnt(0)
	v_mul_f32_e32 v8, v11, v5
	v_fmac_f32_e32 v8, v10, v4
	v_cvt_f64_f32_e32 v[8:9], v8
	v_mul_f32_e32 v4, v11, v4
	v_mul_f64 v[8:9], v[8:9], s[0:1]
	v_fma_f32 v4, v10, v5, -v4
	v_cvt_f32_f64_e32 v12, v[8:9]
	v_cvt_f64_f32_e32 v[4:5], v4
	ds_read2_b64 v[8:11], v159 offset0:32 offset1:140
	v_mul_f64 v[4:5], v[4:5], s[0:1]
	v_mad_u64_u32 v[0:1], s[6:7], s4, v14, v[0:1]
	v_cvt_f32_f64_e32 v13, v[4:5]
	v_add_u32_e32 v1, s2, v1
	global_store_dwordx2 v[0:1], v[12:13], off
	v_accvgpr_read_b32 v12, a48
	v_accvgpr_read_b32 v13, a49
	s_waitcnt lgkmcnt(0)
	v_mul_f32_e32 v4, v13, v9
	v_fmac_f32_e32 v4, v12, v8
	v_cvt_f64_f32_e32 v[4:5], v4
	v_mul_f64 v[4:5], v[4:5], s[0:1]
	v_cvt_f32_f64_e32 v4, v[4:5]
	v_mul_f32_e32 v5, v13, v8
	v_fma_f32 v5, v12, v9, -v5
	v_cvt_f64_f32_e32 v[8:9], v5
	v_mul_f64 v[8:9], v[8:9], s[0:1]
	v_cvt_f32_f64_e32 v5, v[8:9]
	v_mad_u64_u32 v[0:1], s[6:7], s4, v14, v[0:1]
	v_accvgpr_read_b32 v8, a44
	v_add_u32_e32 v1, s2, v1
	v_accvgpr_read_b32 v9, a45
	global_store_dwordx2 v[0:1], v[4:5], off
	v_mul_f32_e32 v4, v9, v3
	v_fmac_f32_e32 v4, v8, v2
	v_mul_f32_e32 v2, v9, v2
	v_fma_f32 v2, v8, v3, -v2
	v_mov_b32_e32 v15, 0xffffbfe0
	v_cvt_f64_f32_e32 v[4:5], v4
	v_cvt_f64_f32_e32 v[2:3], v2
	v_mul_f64 v[4:5], v[4:5], s[0:1]
	v_mul_f64 v[2:3], v[2:3], s[0:1]
	v_mad_u64_u32 v[0:1], s[6:7], s4, v15, v[0:1]
	v_cvt_f32_f64_e32 v4, v[4:5]
	v_cvt_f32_f64_e32 v5, v[2:3]
	v_add_u32_e32 v1, s3, v1
	global_store_dwordx2 v[0:1], v[4:5], off
	v_accvgpr_read_b32 v4, a40
	v_accvgpr_read_b32 v5, a41
	v_mul_f32_e32 v2, v5, v7
	v_fmac_f32_e32 v2, v4, v6
	v_cvt_f64_f32_e32 v[2:3], v2
	v_mul_f64 v[2:3], v[2:3], s[0:1]
	v_cvt_f32_f64_e32 v2, v[2:3]
	v_mul_f32_e32 v3, v5, v6
	v_fma_f32 v3, v4, v7, -v3
	v_cvt_f64_f32_e32 v[4:5], v3
	v_mul_f64 v[4:5], v[4:5], s[0:1]
	v_cvt_f32_f64_e32 v3, v[4:5]
	v_mad_u64_u32 v[4:5], s[6:7], s4, v14, v[0:1]
	v_add_u32_e32 v5, s2, v5
	global_store_dwordx2 v[4:5], v[2:3], off
	v_accvgpr_read_b32 v2, a36
	v_accvgpr_read_b32 v3, a37
	v_mul_f32_e32 v0, v3, v11
	v_fmac_f32_e32 v0, v2, v10
	v_cvt_f64_f32_e32 v[0:1], v0
	v_mul_f64 v[0:1], v[0:1], s[0:1]
	v_cvt_f32_f64_e32 v6, v[0:1]
	v_mul_f32_e32 v0, v3, v10
	v_fma_f32 v0, v2, v11, -v0
	v_cvt_f64_f32_e32 v[0:1], v0
	v_mul_f64 v[0:1], v[0:1], s[0:1]
	v_cvt_f32_f64_e32 v7, v[0:1]
	ds_read2_b64 v[0:3], v147 offset0:136 offset1:244
	v_mad_u64_u32 v[8:9], s[6:7], s4, v14, v[4:5]
	v_add_u32_e32 v9, s2, v9
	global_store_dwordx2 v[8:9], v[6:7], off
	v_accvgpr_read_b32 v6, a32
	v_accvgpr_read_b32 v7, a33
	s_waitcnt lgkmcnt(0)
	v_mul_f32_e32 v4, v7, v1
	v_fmac_f32_e32 v4, v6, v0
	v_mul_f32_e32 v0, v7, v0
	v_cvt_f64_f32_e32 v[4:5], v4
	v_fma_f32 v0, v6, v1, -v0
	v_mul_f64 v[4:5], v[4:5], s[0:1]
	v_cvt_f64_f32_e32 v[0:1], v0
	v_cvt_f32_f64_e32 v10, v[4:5]
	v_mul_f64 v[0:1], v[0:1], s[0:1]
	ds_read2_b64 v[4:7], v246 offset0:64 offset1:172
	v_cvt_f32_f64_e32 v11, v[0:1]
	v_mad_u64_u32 v[0:1], s[6:7], s4, v15, v[8:9]
	v_add_u32_e32 v1, s3, v1
	global_store_dwordx2 v[0:1], v[10:11], off
	v_accvgpr_read_b32 v10, a28
	v_accvgpr_read_b32 v11, a29
	s_waitcnt lgkmcnt(0)
	v_mul_f32_e32 v8, v11, v5
	v_fmac_f32_e32 v8, v10, v4
	v_cvt_f64_f32_e32 v[8:9], v8
	v_mul_f32_e32 v4, v11, v4
	v_mul_f64 v[8:9], v[8:9], s[0:1]
	v_fma_f32 v4, v10, v5, -v4
	v_cvt_f32_f64_e32 v12, v[8:9]
	v_cvt_f64_f32_e32 v[4:5], v4
	ds_read2_b64 v[8:11], v163 offset0:120 offset1:228
	v_mul_f64 v[4:5], v[4:5], s[0:1]
	v_mad_u64_u32 v[0:1], s[6:7], s4, v14, v[0:1]
	v_cvt_f32_f64_e32 v13, v[4:5]
	v_add_u32_e32 v1, s2, v1
	global_store_dwordx2 v[0:1], v[12:13], off
	v_accvgpr_read_b32 v12, a24
	v_accvgpr_read_b32 v13, a25
	s_waitcnt lgkmcnt(0)
	v_mul_f32_e32 v4, v13, v9
	v_fmac_f32_e32 v4, v12, v8
	v_cvt_f64_f32_e32 v[4:5], v4
	v_mul_f64 v[4:5], v[4:5], s[0:1]
	v_cvt_f32_f64_e32 v4, v[4:5]
	v_mul_f32_e32 v5, v13, v8
	v_fma_f32 v5, v12, v9, -v5
	v_cvt_f64_f32_e32 v[8:9], v5
	v_mul_f64 v[8:9], v[8:9], s[0:1]
	v_cvt_f32_f64_e32 v5, v[8:9]
	v_mad_u64_u32 v[0:1], s[6:7], s4, v14, v[0:1]
	v_accvgpr_read_b32 v8, a22
	v_add_u32_e32 v1, s2, v1
	v_accvgpr_read_b32 v9, a23
	global_store_dwordx2 v[0:1], v[4:5], off
	v_mul_f32_e32 v4, v9, v3
	v_fmac_f32_e32 v4, v8, v2
	v_mul_f32_e32 v2, v9, v2
	v_fma_f32 v2, v8, v3, -v2
	v_cvt_f64_f32_e32 v[4:5], v4
	v_cvt_f64_f32_e32 v[2:3], v2
	v_mov_b32_e32 v12, 0xffffbfe0
	v_mul_f64 v[4:5], v[4:5], s[0:1]
	v_mul_f64 v[2:3], v[2:3], s[0:1]
	v_mad_u64_u32 v[0:1], s[6:7], s4, v12, v[0:1]
	v_cvt_f32_f64_e32 v4, v[4:5]
	v_cvt_f32_f64_e32 v5, v[2:3]
	v_add_u32_e32 v1, s3, v1
	global_store_dwordx2 v[0:1], v[4:5], off
	v_accvgpr_read_b32 v4, a18
	v_accvgpr_read_b32 v5, a19
	v_mul_f32_e32 v2, v5, v7
	v_fmac_f32_e32 v2, v4, v6
	v_cvt_f64_f32_e32 v[2:3], v2
	v_mul_f64 v[2:3], v[2:3], s[0:1]
	v_cvt_f32_f64_e32 v2, v[2:3]
	v_mul_f32_e32 v3, v5, v6
	v_fma_f32 v3, v4, v7, -v3
	v_cvt_f64_f32_e32 v[4:5], v3
	v_mul_f64 v[4:5], v[4:5], s[0:1]
	v_cvt_f32_f64_e32 v3, v[4:5]
	v_mad_u64_u32 v[4:5], s[6:7], s4, v14, v[0:1]
	v_add_u32_e32 v5, s2, v5
	global_store_dwordx2 v[4:5], v[2:3], off
	v_accvgpr_read_b32 v2, a16
	v_accvgpr_read_b32 v3, a17
	v_mul_f32_e32 v0, v3, v11
	v_fmac_f32_e32 v0, v2, v10
	v_cvt_f64_f32_e32 v[0:1], v0
	v_mul_f64 v[0:1], v[0:1], s[0:1]
	v_cvt_f32_f64_e32 v6, v[0:1]
	v_mul_f32_e32 v0, v3, v10
	v_fma_f32 v0, v2, v11, -v0
	v_cvt_f64_f32_e32 v[0:1], v0
	v_mul_f64 v[0:1], v[0:1], s[0:1]
	v_cvt_f32_f64_e32 v7, v[0:1]
	ds_read2_b64 v[0:3], v139 offset0:96 offset1:204
	v_mad_u64_u32 v[8:9], s[6:7], s4, v14, v[4:5]
	v_add_u32_e32 v9, s2, v9
	global_store_dwordx2 v[8:9], v[6:7], off
	v_accvgpr_read_b32 v6, a14
	v_accvgpr_read_b32 v7, a15
	s_waitcnt lgkmcnt(0)
	v_mul_f32_e32 v4, v7, v1
	v_fmac_f32_e32 v4, v6, v0
	v_mul_f32_e32 v0, v7, v0
	v_cvt_f64_f32_e32 v[4:5], v4
	v_fma_f32 v0, v6, v1, -v0
	v_mul_f64 v[4:5], v[4:5], s[0:1]
	v_cvt_f64_f32_e32 v[0:1], v0
	v_cvt_f32_f64_e32 v10, v[4:5]
	v_mul_f64 v[0:1], v[0:1], s[0:1]
	ds_read2_b64 v[4:7], v189 offset0:24 offset1:132
	v_cvt_f32_f64_e32 v11, v[0:1]
	v_mad_u64_u32 v[0:1], s[6:7], s4, v12, v[8:9]
	v_add_u32_e32 v1, s3, v1
	global_store_dwordx2 v[0:1], v[10:11], off
	v_accvgpr_read_b32 v10, a12
	v_accvgpr_read_b32 v11, a13
	s_waitcnt lgkmcnt(0)
	v_mul_f32_e32 v8, v11, v5
	v_fmac_f32_e32 v8, v10, v4
	v_cvt_f64_f32_e32 v[8:9], v8
	v_mul_f64 v[8:9], v[8:9], s[0:1]
	v_mul_f32_e32 v4, v11, v4
	v_cvt_f32_f64_e32 v12, v[8:9]
	v_fma_f32 v4, v10, v5, -v4
	ds_read2_b64 v[8:11], v155 offset0:80 offset1:188
	v_cvt_f64_f32_e32 v[4:5], v4
	v_mul_f64 v[4:5], v[4:5], s[0:1]
	v_mad_u64_u32 v[0:1], s[6:7], s4, v14, v[0:1]
	v_cvt_f32_f64_e32 v13, v[4:5]
	v_add_u32_e32 v1, s2, v1
	global_store_dwordx2 v[0:1], v[12:13], off
	v_accvgpr_read_b32 v13, a11
	v_accvgpr_read_b32 v12, a10
	s_waitcnt lgkmcnt(0)
	v_mul_f32_e32 v4, v13, v9
	v_fmac_f32_e32 v4, v12, v8
	v_cvt_f64_f32_e32 v[4:5], v4
	v_mul_f64 v[4:5], v[4:5], s[0:1]
	v_cvt_f32_f64_e32 v4, v[4:5]
	v_mul_f32_e32 v5, v13, v8
	v_fma_f32 v5, v12, v9, -v5
	v_cvt_f64_f32_e32 v[8:9], v5
	v_mul_f64 v[8:9], v[8:9], s[0:1]
	v_cvt_f32_f64_e32 v5, v[8:9]
	v_mad_u64_u32 v[0:1], s[6:7], s4, v14, v[0:1]
	v_accvgpr_read_b32 v8, a8
	v_add_u32_e32 v1, s2, v1
	v_accvgpr_read_b32 v9, a9
	global_store_dwordx2 v[0:1], v[4:5], off
	v_mul_f32_e32 v4, v9, v3
	v_fmac_f32_e32 v4, v8, v2
	v_mul_f32_e32 v2, v9, v2
	v_fma_f32 v2, v8, v3, -v2
	v_mov_b32_e32 v15, 0xffffbfe0
	v_cvt_f64_f32_e32 v[4:5], v4
	v_cvt_f64_f32_e32 v[2:3], v2
	v_mul_f64 v[4:5], v[4:5], s[0:1]
	v_mul_f64 v[2:3], v[2:3], s[0:1]
	v_mad_u64_u32 v[0:1], s[6:7], s4, v15, v[0:1]
	v_cvt_f32_f64_e32 v4, v[4:5]
	v_cvt_f32_f64_e32 v5, v[2:3]
	v_add_u32_e32 v1, s3, v1
	global_store_dwordx2 v[0:1], v[4:5], off
	v_accvgpr_read_b32 v4, a6
	v_accvgpr_read_b32 v5, a7
	v_mul_f32_e32 v2, v5, v7
	v_fmac_f32_e32 v2, v4, v6
	v_cvt_f64_f32_e32 v[2:3], v2
	v_mul_f64 v[2:3], v[2:3], s[0:1]
	v_cvt_f32_f64_e32 v2, v[2:3]
	v_mul_f32_e32 v3, v5, v6
	v_fma_f32 v3, v4, v7, -v3
	v_cvt_f64_f32_e32 v[4:5], v3
	v_mul_f64 v[4:5], v[4:5], s[0:1]
	v_cvt_f32_f64_e32 v3, v[4:5]
	v_mad_u64_u32 v[0:1], s[6:7], s4, v14, v[0:1]
	v_accvgpr_read_b32 v4, a4
	v_add_u32_e32 v1, s2, v1
	v_accvgpr_read_b32 v5, a5
	global_store_dwordx2 v[0:1], v[2:3], off
	v_mul_f32_e32 v2, v5, v11
	v_fmac_f32_e32 v2, v4, v10
	v_cvt_f64_f32_e32 v[2:3], v2
	v_mul_f64 v[2:3], v[2:3], s[0:1]
	v_cvt_f32_f64_e32 v2, v[2:3]
	v_mul_f32_e32 v3, v5, v10
	v_fma_f32 v3, v4, v11, -v3
	v_cvt_f64_f32_e32 v[4:5], v3
	v_mul_f64 v[4:5], v[4:5], s[0:1]
	v_mad_u64_u32 v[0:1], s[0:1], s4, v14, v[0:1]
	v_cvt_f32_f64_e32 v3, v[4:5]
	v_add_u32_e32 v1, s2, v1
	global_store_dwordx2 v[0:1], v[2:3], off
.LBB0_2:
	s_endpgm
	.section	.rodata,"a",@progbits
	.p2align	6, 0x0
	.amdhsa_kernel bluestein_single_back_len3240_dim1_sp_op_CI_CI
		.amdhsa_group_segment_fixed_size 25920
		.amdhsa_private_segment_fixed_size 0
		.amdhsa_kernarg_size 104
		.amdhsa_user_sgpr_count 2
		.amdhsa_user_sgpr_dispatch_ptr 0
		.amdhsa_user_sgpr_queue_ptr 0
		.amdhsa_user_sgpr_kernarg_segment_ptr 1
		.amdhsa_user_sgpr_dispatch_id 0
		.amdhsa_user_sgpr_kernarg_preload_length 0
		.amdhsa_user_sgpr_kernarg_preload_offset 0
		.amdhsa_user_sgpr_private_segment_size 0
		.amdhsa_uses_dynamic_stack 0
		.amdhsa_enable_private_segment 0
		.amdhsa_system_sgpr_workgroup_id_x 1
		.amdhsa_system_sgpr_workgroup_id_y 0
		.amdhsa_system_sgpr_workgroup_id_z 0
		.amdhsa_system_sgpr_workgroup_info 0
		.amdhsa_system_vgpr_workitem_id 0
		.amdhsa_next_free_vgpr 469
		.amdhsa_next_free_sgpr 23
		.amdhsa_accum_offset 256
		.amdhsa_reserve_vcc 1
		.amdhsa_float_round_mode_32 0
		.amdhsa_float_round_mode_16_64 0
		.amdhsa_float_denorm_mode_32 3
		.amdhsa_float_denorm_mode_16_64 3
		.amdhsa_dx10_clamp 1
		.amdhsa_ieee_mode 1
		.amdhsa_fp16_overflow 0
		.amdhsa_tg_split 0
		.amdhsa_exception_fp_ieee_invalid_op 0
		.amdhsa_exception_fp_denorm_src 0
		.amdhsa_exception_fp_ieee_div_zero 0
		.amdhsa_exception_fp_ieee_overflow 0
		.amdhsa_exception_fp_ieee_underflow 0
		.amdhsa_exception_fp_ieee_inexact 0
		.amdhsa_exception_int_div_zero 0
	.end_amdhsa_kernel
	.text
.Lfunc_end0:
	.size	bluestein_single_back_len3240_dim1_sp_op_CI_CI, .Lfunc_end0-bluestein_single_back_len3240_dim1_sp_op_CI_CI
                                        ; -- End function
	.section	.AMDGPU.csdata,"",@progbits
; Kernel info:
; codeLenInByte = 32492
; NumSgprs: 29
; NumVgprs: 256
; NumAgprs: 213
; TotalNumVgprs: 469
; ScratchSize: 0
; MemoryBound: 0
; FloatMode: 240
; IeeeMode: 1
; LDSByteSize: 25920 bytes/workgroup (compile time only)
; SGPRBlocks: 3
; VGPRBlocks: 58
; NumSGPRsForWavesPerEU: 29
; NumVGPRsForWavesPerEU: 469
; AccumOffset: 256
; Occupancy: 1
; WaveLimiterHint : 1
; COMPUTE_PGM_RSRC2:SCRATCH_EN: 0
; COMPUTE_PGM_RSRC2:USER_SGPR: 2
; COMPUTE_PGM_RSRC2:TRAP_HANDLER: 0
; COMPUTE_PGM_RSRC2:TGID_X_EN: 1
; COMPUTE_PGM_RSRC2:TGID_Y_EN: 0
; COMPUTE_PGM_RSRC2:TGID_Z_EN: 0
; COMPUTE_PGM_RSRC2:TIDIG_COMP_CNT: 0
; COMPUTE_PGM_RSRC3_GFX90A:ACCUM_OFFSET: 63
; COMPUTE_PGM_RSRC3_GFX90A:TG_SPLIT: 0
	.text
	.p2alignl 6, 3212836864
	.fill 256, 4, 3212836864
	.type	__hip_cuid_fca9eee9e04c7910,@object ; @__hip_cuid_fca9eee9e04c7910
	.section	.bss,"aw",@nobits
	.globl	__hip_cuid_fca9eee9e04c7910
__hip_cuid_fca9eee9e04c7910:
	.byte	0                               ; 0x0
	.size	__hip_cuid_fca9eee9e04c7910, 1

	.ident	"AMD clang version 19.0.0git (https://github.com/RadeonOpenCompute/llvm-project roc-6.4.0 25133 c7fe45cf4b819c5991fe208aaa96edf142730f1d)"
	.section	".note.GNU-stack","",@progbits
	.addrsig
	.addrsig_sym __hip_cuid_fca9eee9e04c7910
	.amdgpu_metadata
---
amdhsa.kernels:
  - .agpr_count:     213
    .args:
      - .actual_access:  read_only
        .address_space:  global
        .offset:         0
        .size:           8
        .value_kind:     global_buffer
      - .actual_access:  read_only
        .address_space:  global
        .offset:         8
        .size:           8
        .value_kind:     global_buffer
      - .actual_access:  read_only
        .address_space:  global
        .offset:         16
        .size:           8
        .value_kind:     global_buffer
      - .actual_access:  read_only
        .address_space:  global
        .offset:         24
        .size:           8
        .value_kind:     global_buffer
      - .actual_access:  read_only
        .address_space:  global
        .offset:         32
        .size:           8
        .value_kind:     global_buffer
      - .offset:         40
        .size:           8
        .value_kind:     by_value
      - .address_space:  global
        .offset:         48
        .size:           8
        .value_kind:     global_buffer
      - .address_space:  global
        .offset:         56
        .size:           8
        .value_kind:     global_buffer
      - .address_space:  global
        .offset:         64
        .size:           8
        .value_kind:     global_buffer
      - .address_space:  global
        .offset:         72
        .size:           8
        .value_kind:     global_buffer
      - .offset:         80
        .size:           4
        .value_kind:     by_value
      - .address_space:  global
        .offset:         88
        .size:           8
        .value_kind:     global_buffer
      - .address_space:  global
        .offset:         96
        .size:           8
        .value_kind:     global_buffer
    .group_segment_fixed_size: 25920
    .kernarg_segment_align: 8
    .kernarg_segment_size: 104
    .language:       OpenCL C
    .language_version:
      - 2
      - 0
    .max_flat_workgroup_size: 108
    .name:           bluestein_single_back_len3240_dim1_sp_op_CI_CI
    .private_segment_fixed_size: 0
    .sgpr_count:     29
    .sgpr_spill_count: 0
    .symbol:         bluestein_single_back_len3240_dim1_sp_op_CI_CI.kd
    .uniform_work_group_size: 1
    .uses_dynamic_stack: false
    .vgpr_count:     469
    .vgpr_spill_count: 0
    .wavefront_size: 64
amdhsa.target:   amdgcn-amd-amdhsa--gfx950
amdhsa.version:
  - 1
  - 2
...

	.end_amdgpu_metadata
